;; amdgpu-corpus repo=ROCm/rocFFT kind=compiled arch=gfx1201 opt=O3
	.text
	.amdgcn_target "amdgcn-amd-amdhsa--gfx1201"
	.amdhsa_code_object_version 6
	.protected	fft_rtc_fwd_len945_factors_3_3_3_5_7_wgs_63_tpt_63_halfLds_sp_ip_CI_unitstride_sbrr_dirReg ; -- Begin function fft_rtc_fwd_len945_factors_3_3_3_5_7_wgs_63_tpt_63_halfLds_sp_ip_CI_unitstride_sbrr_dirReg
	.globl	fft_rtc_fwd_len945_factors_3_3_3_5_7_wgs_63_tpt_63_halfLds_sp_ip_CI_unitstride_sbrr_dirReg
	.p2align	8
	.type	fft_rtc_fwd_len945_factors_3_3_3_5_7_wgs_63_tpt_63_halfLds_sp_ip_CI_unitstride_sbrr_dirReg,@function
fft_rtc_fwd_len945_factors_3_3_3_5_7_wgs_63_tpt_63_halfLds_sp_ip_CI_unitstride_sbrr_dirReg: ; @fft_rtc_fwd_len945_factors_3_3_3_5_7_wgs_63_tpt_63_halfLds_sp_ip_CI_unitstride_sbrr_dirReg
; %bb.0:
	s_clause 0x2
	s_load_b128 s[4:7], s[0:1], 0x0
	s_load_b64 s[8:9], s[0:1], 0x50
	s_load_b64 s[10:11], s[0:1], 0x18
	v_mul_u32_u24_e32 v1, 0x411, v0
	v_mov_b32_e32 v3, 0
	s_delay_alu instid0(VALU_DEP_2) | instskip(NEXT) | instid1(VALU_DEP_1)
	v_lshrrev_b32_e32 v1, 16, v1
	v_add_nc_u32_e32 v5, ttmp9, v1
	v_mov_b32_e32 v1, 0
	v_mov_b32_e32 v2, 0
	;; [unrolled: 1-line block ×3, first 2 shown]
	s_wait_kmcnt 0x0
	v_cmp_lt_u64_e64 s2, s[6:7], 2
	s_delay_alu instid0(VALU_DEP_1)
	s_and_b32 vcc_lo, exec_lo, s2
	s_cbranch_vccnz .LBB0_8
; %bb.1:
	s_load_b64 s[2:3], s[0:1], 0x10
	v_mov_b32_e32 v1, 0
	v_mov_b32_e32 v2, 0
	s_add_nc_u64 s[12:13], s[10:11], 8
	s_mov_b64 s[14:15], 1
	s_wait_kmcnt 0x0
	s_add_nc_u64 s[16:17], s[2:3], 8
	s_mov_b32 s3, 0
.LBB0_2:                                ; =>This Inner Loop Header: Depth=1
	s_load_b64 s[18:19], s[16:17], 0x0
                                        ; implicit-def: $vgpr7_vgpr8
	s_mov_b32 s2, exec_lo
	s_wait_kmcnt 0x0
	v_or_b32_e32 v4, s19, v6
	s_delay_alu instid0(VALU_DEP_1)
	v_cmpx_ne_u64_e32 0, v[3:4]
	s_wait_alu 0xfffe
	s_xor_b32 s20, exec_lo, s2
	s_cbranch_execz .LBB0_4
; %bb.3:                                ;   in Loop: Header=BB0_2 Depth=1
	s_cvt_f32_u32 s2, s18
	s_cvt_f32_u32 s21, s19
	s_sub_nc_u64 s[24:25], 0, s[18:19]
	s_wait_alu 0xfffe
	s_delay_alu instid0(SALU_CYCLE_1) | instskip(SKIP_1) | instid1(SALU_CYCLE_2)
	s_fmamk_f32 s2, s21, 0x4f800000, s2
	s_wait_alu 0xfffe
	v_s_rcp_f32 s2, s2
	s_delay_alu instid0(TRANS32_DEP_1) | instskip(SKIP_1) | instid1(SALU_CYCLE_2)
	s_mul_f32 s2, s2, 0x5f7ffffc
	s_wait_alu 0xfffe
	s_mul_f32 s21, s2, 0x2f800000
	s_wait_alu 0xfffe
	s_delay_alu instid0(SALU_CYCLE_2) | instskip(SKIP_1) | instid1(SALU_CYCLE_2)
	s_trunc_f32 s21, s21
	s_wait_alu 0xfffe
	s_fmamk_f32 s2, s21, 0xcf800000, s2
	s_cvt_u32_f32 s23, s21
	s_wait_alu 0xfffe
	s_delay_alu instid0(SALU_CYCLE_1) | instskip(SKIP_1) | instid1(SALU_CYCLE_2)
	s_cvt_u32_f32 s22, s2
	s_wait_alu 0xfffe
	s_mul_u64 s[26:27], s[24:25], s[22:23]
	s_wait_alu 0xfffe
	s_mul_hi_u32 s29, s22, s27
	s_mul_i32 s28, s22, s27
	s_mul_hi_u32 s2, s22, s26
	s_mul_i32 s30, s23, s26
	s_wait_alu 0xfffe
	s_add_nc_u64 s[28:29], s[2:3], s[28:29]
	s_mul_hi_u32 s21, s23, s26
	s_mul_hi_u32 s31, s23, s27
	s_add_co_u32 s2, s28, s30
	s_wait_alu 0xfffe
	s_add_co_ci_u32 s2, s29, s21
	s_mul_i32 s26, s23, s27
	s_add_co_ci_u32 s27, s31, 0
	s_wait_alu 0xfffe
	s_add_nc_u64 s[26:27], s[2:3], s[26:27]
	s_wait_alu 0xfffe
	v_add_co_u32 v4, s2, s22, s26
	s_delay_alu instid0(VALU_DEP_1) | instskip(SKIP_1) | instid1(VALU_DEP_1)
	s_cmp_lg_u32 s2, 0
	s_add_co_ci_u32 s23, s23, s27
	v_readfirstlane_b32 s22, v4
	s_wait_alu 0xfffe
	s_delay_alu instid0(VALU_DEP_1)
	s_mul_u64 s[24:25], s[24:25], s[22:23]
	s_wait_alu 0xfffe
	s_mul_hi_u32 s27, s22, s25
	s_mul_i32 s26, s22, s25
	s_mul_hi_u32 s2, s22, s24
	s_mul_i32 s28, s23, s24
	s_wait_alu 0xfffe
	s_add_nc_u64 s[26:27], s[2:3], s[26:27]
	s_mul_hi_u32 s21, s23, s24
	s_mul_hi_u32 s22, s23, s25
	s_wait_alu 0xfffe
	s_add_co_u32 s2, s26, s28
	s_add_co_ci_u32 s2, s27, s21
	s_mul_i32 s24, s23, s25
	s_add_co_ci_u32 s25, s22, 0
	s_wait_alu 0xfffe
	s_add_nc_u64 s[24:25], s[2:3], s[24:25]
	s_wait_alu 0xfffe
	v_add_co_u32 v4, s2, v4, s24
	s_delay_alu instid0(VALU_DEP_1) | instskip(SKIP_1) | instid1(VALU_DEP_1)
	s_cmp_lg_u32 s2, 0
	s_add_co_ci_u32 s2, s23, s25
	v_mul_hi_u32 v13, v5, v4
	s_wait_alu 0xfffe
	v_mad_co_u64_u32 v[7:8], null, v5, s2, 0
	v_mad_co_u64_u32 v[9:10], null, v6, v4, 0
	;; [unrolled: 1-line block ×3, first 2 shown]
	s_delay_alu instid0(VALU_DEP_3) | instskip(SKIP_1) | instid1(VALU_DEP_4)
	v_add_co_u32 v4, vcc_lo, v13, v7
	s_wait_alu 0xfffd
	v_add_co_ci_u32_e32 v7, vcc_lo, 0, v8, vcc_lo
	s_delay_alu instid0(VALU_DEP_2) | instskip(SKIP_1) | instid1(VALU_DEP_2)
	v_add_co_u32 v4, vcc_lo, v4, v9
	s_wait_alu 0xfffd
	v_add_co_ci_u32_e32 v4, vcc_lo, v7, v10, vcc_lo
	s_wait_alu 0xfffd
	v_add_co_ci_u32_e32 v7, vcc_lo, 0, v12, vcc_lo
	s_delay_alu instid0(VALU_DEP_2) | instskip(SKIP_1) | instid1(VALU_DEP_2)
	v_add_co_u32 v4, vcc_lo, v4, v11
	s_wait_alu 0xfffd
	v_add_co_ci_u32_e32 v9, vcc_lo, 0, v7, vcc_lo
	s_delay_alu instid0(VALU_DEP_2) | instskip(SKIP_1) | instid1(VALU_DEP_3)
	v_mul_lo_u32 v10, s19, v4
	v_mad_co_u64_u32 v[7:8], null, s18, v4, 0
	v_mul_lo_u32 v11, s18, v9
	s_delay_alu instid0(VALU_DEP_2) | instskip(NEXT) | instid1(VALU_DEP_2)
	v_sub_co_u32 v7, vcc_lo, v5, v7
	v_add3_u32 v8, v8, v11, v10
	s_delay_alu instid0(VALU_DEP_1) | instskip(SKIP_1) | instid1(VALU_DEP_1)
	v_sub_nc_u32_e32 v10, v6, v8
	s_wait_alu 0xfffd
	v_subrev_co_ci_u32_e64 v10, s2, s19, v10, vcc_lo
	v_add_co_u32 v11, s2, v4, 2
	s_wait_alu 0xf1ff
	v_add_co_ci_u32_e64 v12, s2, 0, v9, s2
	v_sub_co_u32 v13, s2, v7, s18
	v_sub_co_ci_u32_e32 v8, vcc_lo, v6, v8, vcc_lo
	s_wait_alu 0xf1ff
	v_subrev_co_ci_u32_e64 v10, s2, 0, v10, s2
	s_delay_alu instid0(VALU_DEP_3) | instskip(NEXT) | instid1(VALU_DEP_3)
	v_cmp_le_u32_e32 vcc_lo, s18, v13
	v_cmp_eq_u32_e64 s2, s19, v8
	s_wait_alu 0xfffd
	v_cndmask_b32_e64 v13, 0, -1, vcc_lo
	v_cmp_le_u32_e32 vcc_lo, s19, v10
	s_wait_alu 0xfffd
	v_cndmask_b32_e64 v14, 0, -1, vcc_lo
	v_cmp_le_u32_e32 vcc_lo, s18, v7
	;; [unrolled: 3-line block ×3, first 2 shown]
	s_wait_alu 0xfffd
	v_cndmask_b32_e64 v15, 0, -1, vcc_lo
	v_cmp_eq_u32_e32 vcc_lo, s19, v10
	s_wait_alu 0xf1ff
	s_delay_alu instid0(VALU_DEP_2)
	v_cndmask_b32_e64 v7, v15, v7, s2
	s_wait_alu 0xfffd
	v_cndmask_b32_e32 v10, v14, v13, vcc_lo
	v_add_co_u32 v13, vcc_lo, v4, 1
	s_wait_alu 0xfffd
	v_add_co_ci_u32_e32 v14, vcc_lo, 0, v9, vcc_lo
	s_delay_alu instid0(VALU_DEP_3) | instskip(SKIP_2) | instid1(VALU_DEP_3)
	v_cmp_ne_u32_e32 vcc_lo, 0, v10
	s_wait_alu 0xfffd
	v_cndmask_b32_e32 v10, v13, v11, vcc_lo
	v_cndmask_b32_e32 v8, v14, v12, vcc_lo
	v_cmp_ne_u32_e32 vcc_lo, 0, v7
	s_wait_alu 0xfffd
	s_delay_alu instid0(VALU_DEP_2)
	v_dual_cndmask_b32 v7, v4, v10 :: v_dual_cndmask_b32 v8, v9, v8
.LBB0_4:                                ;   in Loop: Header=BB0_2 Depth=1
	s_wait_alu 0xfffe
	s_and_not1_saveexec_b32 s2, s20
	s_cbranch_execz .LBB0_6
; %bb.5:                                ;   in Loop: Header=BB0_2 Depth=1
	v_cvt_f32_u32_e32 v4, s18
	s_sub_co_i32 s20, 0, s18
	s_delay_alu instid0(VALU_DEP_1) | instskip(NEXT) | instid1(TRANS32_DEP_1)
	v_rcp_iflag_f32_e32 v4, v4
	v_mul_f32_e32 v4, 0x4f7ffffe, v4
	s_delay_alu instid0(VALU_DEP_1) | instskip(SKIP_1) | instid1(VALU_DEP_1)
	v_cvt_u32_f32_e32 v4, v4
	s_wait_alu 0xfffe
	v_mul_lo_u32 v7, s20, v4
	s_delay_alu instid0(VALU_DEP_1) | instskip(NEXT) | instid1(VALU_DEP_1)
	v_mul_hi_u32 v7, v4, v7
	v_add_nc_u32_e32 v4, v4, v7
	s_delay_alu instid0(VALU_DEP_1) | instskip(NEXT) | instid1(VALU_DEP_1)
	v_mul_hi_u32 v4, v5, v4
	v_mul_lo_u32 v7, v4, s18
	v_add_nc_u32_e32 v8, 1, v4
	s_delay_alu instid0(VALU_DEP_2) | instskip(NEXT) | instid1(VALU_DEP_1)
	v_sub_nc_u32_e32 v7, v5, v7
	v_subrev_nc_u32_e32 v9, s18, v7
	v_cmp_le_u32_e32 vcc_lo, s18, v7
	s_wait_alu 0xfffd
	s_delay_alu instid0(VALU_DEP_2) | instskip(NEXT) | instid1(VALU_DEP_1)
	v_dual_cndmask_b32 v7, v7, v9 :: v_dual_cndmask_b32 v4, v4, v8
	v_cmp_le_u32_e32 vcc_lo, s18, v7
	s_delay_alu instid0(VALU_DEP_2) | instskip(SKIP_1) | instid1(VALU_DEP_1)
	v_add_nc_u32_e32 v8, 1, v4
	s_wait_alu 0xfffd
	v_dual_cndmask_b32 v7, v4, v8 :: v_dual_mov_b32 v8, v3
.LBB0_6:                                ;   in Loop: Header=BB0_2 Depth=1
	s_wait_alu 0xfffe
	s_or_b32 exec_lo, exec_lo, s2
	s_load_b64 s[20:21], s[12:13], 0x0
	s_delay_alu instid0(VALU_DEP_1)
	v_mul_lo_u32 v4, v8, s18
	v_mul_lo_u32 v11, v7, s19
	v_mad_co_u64_u32 v[9:10], null, v7, s18, 0
	s_add_nc_u64 s[14:15], s[14:15], 1
	s_add_nc_u64 s[12:13], s[12:13], 8
	s_wait_alu 0xfffe
	v_cmp_ge_u64_e64 s2, s[14:15], s[6:7]
	s_add_nc_u64 s[16:17], s[16:17], 8
	s_delay_alu instid0(VALU_DEP_2) | instskip(NEXT) | instid1(VALU_DEP_3)
	v_add3_u32 v4, v10, v11, v4
	v_sub_co_u32 v5, vcc_lo, v5, v9
	s_wait_alu 0xfffd
	s_delay_alu instid0(VALU_DEP_2) | instskip(SKIP_3) | instid1(VALU_DEP_2)
	v_sub_co_ci_u32_e32 v4, vcc_lo, v6, v4, vcc_lo
	s_and_b32 vcc_lo, exec_lo, s2
	s_wait_kmcnt 0x0
	v_mul_lo_u32 v6, s21, v5
	v_mul_lo_u32 v4, s20, v4
	v_mad_co_u64_u32 v[1:2], null, s20, v5, v[1:2]
	s_delay_alu instid0(VALU_DEP_1)
	v_add3_u32 v2, v6, v2, v4
	s_wait_alu 0xfffe
	s_cbranch_vccnz .LBB0_9
; %bb.7:                                ;   in Loop: Header=BB0_2 Depth=1
	v_dual_mov_b32 v5, v7 :: v_dual_mov_b32 v6, v8
	s_branch .LBB0_2
.LBB0_8:
	v_dual_mov_b32 v8, v6 :: v_dual_mov_b32 v7, v5
.LBB0_9:
	s_lshl_b64 s[2:3], s[6:7], 3
	v_mul_hi_u32 v5, 0x4104105, v0
	s_wait_alu 0xfffe
	s_add_nc_u64 s[2:3], s[10:11], s[2:3]
                                        ; implicit-def: $vgpr10
                                        ; implicit-def: $vgpr32
                                        ; implicit-def: $vgpr34
                                        ; implicit-def: $vgpr26
                                        ; implicit-def: $vgpr22
                                        ; implicit-def: $vgpr28
                                        ; implicit-def: $vgpr12
                                        ; implicit-def: $vgpr24
                                        ; implicit-def: $vgpr18
                                        ; implicit-def: $vgpr20
                                        ; implicit-def: $vgpr14
                                        ; implicit-def: $vgpr30
                                        ; implicit-def: $vgpr16
	s_load_b64 s[2:3], s[2:3], 0x0
	s_load_b64 s[0:1], s[0:1], 0x20
	s_wait_kmcnt 0x0
	v_mul_lo_u32 v3, s2, v8
	v_mul_lo_u32 v4, s3, v7
	v_mad_co_u64_u32 v[1:2], null, s2, v7, v[1:2]
	v_cmp_gt_u64_e32 vcc_lo, s[0:1], v[7:8]
                                        ; implicit-def: $vgpr7
	s_delay_alu instid0(VALU_DEP_2) | instskip(SKIP_1) | instid1(VALU_DEP_2)
	v_add3_u32 v2, v4, v2, v3
	v_mul_u32_u24_e32 v4, 63, v5
                                        ; implicit-def: $vgpr5
	v_lshlrev_b64_e32 v[2:3], 3, v[1:2]
	s_delay_alu instid0(VALU_DEP_2)
	v_sub_nc_u32_e32 v0, v0, v4
	s_and_saveexec_b32 s1, vcc_lo
; %bb.10:
	v_mov_b32_e32 v1, 0
	s_delay_alu instid0(VALU_DEP_1) | instskip(NEXT) | instid1(VALU_DEP_4)
	v_lshlrev_b64_e32 v[4:5], 3, v[0:1]
	v_add_co_u32 v1, s0, s8, v2
	s_wait_alu 0xf1ff
	v_add_co_ci_u32_e64 v6, s0, s9, v3, s0
	s_delay_alu instid0(VALU_DEP_2) | instskip(SKIP_1) | instid1(VALU_DEP_2)
	v_add_co_u32 v4, s0, v1, v4
	s_wait_alu 0xf1ff
	v_add_co_ci_u32_e64 v5, s0, v6, v5, s0
	s_clause 0xe
	global_load_b64 v[29:30], v[4:5], off offset:5544
	global_load_b64 v[25:26], v[4:5], off offset:3024
	global_load_b64 v[21:22], v[4:5], off offset:3528
	global_load_b64 v[9:10], v[4:5], off
	global_load_b64 v[15:16], v[4:5], off offset:504
	global_load_b64 v[13:14], v[4:5], off offset:1008
	;; [unrolled: 1-line block ×11, first 2 shown]
; %bb.11:
	s_wait_alu 0xfffe
	s_or_b32 exec_lo, exec_lo, s1
	s_wait_loadcnt 0x4
	v_dual_add_f32 v1, v31, v33 :: v_dual_add_f32 v8, v9, v31
	v_dual_add_f32 v36, v32, v34 :: v_dual_sub_f32 v31, v31, v33
	v_cmp_gt_u32_e64 s0, 9, v0
	s_delay_alu instid0(VALU_DEP_3) | instskip(SKIP_4) | instid1(VALU_DEP_3)
	v_fmac_f32_e32 v9, -0.5, v1
	v_sub_f32_e32 v35, v32, v34
	v_dual_add_f32 v1, v10, v32 :: v_dual_add_f32 v8, v8, v33
	v_fmac_f32_e32 v10, -0.5, v36
	v_add_nc_u32_e32 v44, 0x7e, v0
	v_dual_fmamk_f32 v32, v35, 0x3f5db3d7, v9 :: v_dual_add_f32 v33, v1, v34
	v_add_f32_e32 v1, v25, v29
	s_delay_alu instid0(VALU_DEP_4) | instskip(SKIP_2) | instid1(VALU_DEP_4)
	v_dual_fmac_f32 v9, 0xbf5db3d7, v35 :: v_dual_fmamk_f32 v34, v31, 0xbf5db3d7, v10
	v_add_f32_e32 v35, v25, v15
	v_dual_fmac_f32 v10, 0x3f5db3d7, v31 :: v_dual_add_f32 v31, v26, v30
	v_fmac_f32_e32 v15, -0.5, v1
	v_sub_f32_e32 v25, v25, v29
	v_sub_f32_e32 v1, v26, v30
	v_add_f32_e32 v26, v26, v16
	s_delay_alu instid0(VALU_DEP_1) | instskip(SKIP_3) | instid1(VALU_DEP_2)
	v_add_f32_e32 v26, v30, v26
	v_add_f32_e32 v30, v21, v13
	v_fmac_f32_e32 v16, -0.5, v31
	s_wait_loadcnt 0x2
	v_dual_add_f32 v35, v29, v35 :: v_dual_add_f32 v30, v27, v30
	s_delay_alu instid0(VALU_DEP_2)
	v_fmamk_f32 v37, v25, 0xbf5db3d7, v16
	v_dual_fmac_f32 v16, 0x3f5db3d7, v25 :: v_dual_add_f32 v25, v22, v28
	v_fmamk_f32 v29, v1, 0x3f5db3d7, v15
	v_fmac_f32_e32 v15, 0xbf5db3d7, v1
	v_add_f32_e32 v1, v21, v27
	v_sub_f32_e32 v21, v21, v27
	s_delay_alu instid0(VALU_DEP_2) | instskip(SKIP_3) | instid1(VALU_DEP_2)
	v_fmac_f32_e32 v13, -0.5, v1
	v_sub_f32_e32 v1, v22, v28
	v_add_f32_e32 v22, v22, v14
	v_fmac_f32_e32 v14, -0.5, v25
	v_add_f32_e32 v22, v28, v22
	s_delay_alu instid0(VALU_DEP_2) | instskip(SKIP_2) | instid1(VALU_DEP_2)
	v_dual_add_f32 v28, v11, v19 :: v_dual_fmamk_f32 v27, v21, 0xbf5db3d7, v14
	s_wait_loadcnt 0x1
	v_dual_fmac_f32 v14, 0x3f5db3d7, v21 :: v_dual_add_f32 v21, v24, v20
	v_dual_add_f32 v28, v23, v28 :: v_dual_fmamk_f32 v25, v1, 0x3f5db3d7, v13
	v_fmac_f32_e32 v13, 0xbf5db3d7, v1
	v_add_f32_e32 v1, v23, v19
	s_delay_alu instid0(VALU_DEP_1) | instskip(SKIP_2) | instid1(VALU_DEP_2)
	v_fmac_f32_e32 v11, -0.5, v1
	v_sub_f32_e32 v1, v20, v24
	v_add_f32_e32 v20, v12, v20
	v_dual_fmac_f32 v12, -0.5, v21 :: v_dual_fmamk_f32 v21, v1, 0x3f5db3d7, v11
	v_fmac_f32_e32 v11, 0xbf5db3d7, v1
	s_wait_loadcnt 0x0
	v_add_f32_e32 v1, v4, v6
	v_add_f32_e32 v20, v24, v20
	;; [unrolled: 1-line block ×3, first 2 shown]
	s_delay_alu instid0(VALU_DEP_3) | instskip(SKIP_1) | instid1(VALU_DEP_3)
	v_fmac_f32_e32 v17, -0.5, v1
	v_sub_f32_e32 v1, v7, v5
	v_dual_sub_f32 v19, v19, v23 :: v_dual_add_f32 v24, v4, v24
	v_sub_f32_e32 v4, v6, v4
	s_delay_alu instid0(VALU_DEP_3) | instskip(NEXT) | instid1(VALU_DEP_3)
	v_fmamk_f32 v6, v1, 0x3f5db3d7, v17
	v_fmamk_f32 v23, v19, 0xbf5db3d7, v12
	v_fmac_f32_e32 v12, 0x3f5db3d7, v19
	v_add_f32_e32 v19, v5, v7
	s_delay_alu instid0(VALU_DEP_1)
	v_dual_add_f32 v7, v7, v18 :: v_dual_fmac_f32 v18, -0.5, v19
	v_mad_u32_u24 v19, v0, 12, 0
	ds_store_2addr_b32 v19, v8, v32 offset1:1
	ds_store_2addr_b32 v19, v35, v29 offset0:189 offset1:190
	ds_store_2addr_b32 v19, v9, v15 offset0:2 offset1:191
	v_fmamk_f32 v39, v4, 0xbf5db3d7, v18
	v_fmac_f32_e32 v18, 0x3f5db3d7, v4
	v_lshlrev_b32_e32 v4, 3, v0
	v_add_nc_u32_e32 v29, 0x500, v19
	v_add_nc_u32_e32 v32, 0x5e8, v19
	v_add_nc_u32_e32 v35, 0x8dc, v19
	v_add_nc_u32_e32 v40, 0xbd0, v19
	v_sub_nc_u32_e32 v45, v19, v4
	v_fmac_f32_e32 v17, 0xbf5db3d7, v1
	ds_store_2addr_b32 v29, v13, v11 offset0:60 offset1:249
	ds_store_2addr_b32 v35, v28, v21 offset1:1
	ds_store_2addr_b32 v40, v24, v6 offset1:1
	;; [unrolled: 1-line block ×3, first 2 shown]
	ds_store_b32 v19, v17 offset:3032
	v_add_nc_u32_e32 v13, 0x200, v45
	v_add_nc_u32_e32 v17, 0x800, v45
	v_and_b32_e32 v11, 0xff, v0
	v_add_nc_u32_e32 v36, 0x400, v45
	v_add_nc_u32_e32 v30, 0xa00, v45
	v_dual_add_f32 v38, v5, v7 :: v_dual_add_nc_u32 v31, 0x600, v45
	v_add_nc_u32_e32 v1, 63, v0
	global_wb scope:SCOPE_SE
	s_wait_dscnt 0x0
	s_barrier_signal -1
	s_barrier_wait -1
	global_inv scope:SCOPE_SE
	ds_load_2addr_b32 v[6:7], v45 offset1:63
	ds_load_2addr_b32 v[4:5], v13 offset0:124 offset1:187
	ds_load_2addr_b32 v[41:42], v17 offset0:118 offset1:181
	;; [unrolled: 1-line block ×6, first 2 shown]
	ds_load_b32 v43, v45 offset:3528
	global_wb scope:SCOPE_SE
	s_wait_dscnt 0x0
	s_barrier_signal -1
	s_barrier_wait -1
	global_inv scope:SCOPE_SE
	ds_store_2addr_b32 v19, v33, v34 offset1:1
	ds_store_2addr_b32 v19, v26, v37 offset0:189 offset1:190
	ds_store_2addr_b32 v19, v10, v16 offset0:2 offset1:191
	;; [unrolled: 1-line block ×3, first 2 shown]
	ds_store_2addr_b32 v35, v20, v23 offset1:1
	ds_store_2addr_b32 v40, v38, v39 offset1:1
	v_mul_lo_u16 v12, 0xab, v11
	v_and_b32_e32 v10, 0xff, v1
	ds_store_2addr_b32 v32, v22, v27 offset1:1
	ds_store_b32 v19, v18 offset:3032
	v_add_nc_u16 v16, v0, 0xbd
	v_add_nc_u32_e32 v15, 0xfc, v0
	v_lshrrev_b16 v14, 9, v12
	v_and_b32_e32 v12, 0xff, v44
	v_mul_lo_u16 v18, 0xab, v10
	v_and_b32_e32 v52, 0xff, v16
	v_and_b32_e32 v53, 0xffff, v15
	v_mul_lo_u16 v19, v14, 3
	v_mul_lo_u16 v20, 0xab, v12
	v_lshrrev_b16 v66, 9, v18
	global_wb scope:SCOPE_SE
	s_wait_dscnt 0x0
	s_barrier_signal -1
	v_sub_nc_u16 v18, v0, v19
	v_mul_lo_u16 v19, 0xab, v52
	v_lshrrev_b16 v67, 9, v20
	v_mul_lo_u16 v20, v66, 3
	s_barrier_wait -1
	v_and_b32_e32 v68, 0xff, v18
	v_lshrrev_b16 v69, 9, v19
	v_mul_u32_u24_e32 v18, 0xaaab, v53
	v_mul_lo_u16 v19, v67, 3
	v_sub_nc_u16 v20, v1, v20
	v_lshlrev_b32_e32 v21, 4, v68
	global_inv scope:SCOPE_SE
	v_lshrrev_b32_e32 v70, 17, v18
	v_sub_nc_u16 v23, v44, v19
	v_and_b32_e32 v71, 0xff, v20
	global_load_b128 v[18:21], v21, s[4:5]
	v_mul_lo_u16 v22, v69, 3
	v_mul_lo_u16 v24, v70, 3
	v_and_b32_e32 v72, 0xff, v23
	v_lshlrev_b32_e32 v23, 4, v71
	v_mul_lo_u16 v54, v11, 57
	v_sub_nc_u16 v22, v16, v22
	v_sub_nc_u16 v26, v15, v24
	v_lshlrev_b32_e32 v27, 4, v72
	v_mul_lo_u16 v78, v52, 57
	v_lshrrev_b16 v75, 9, v54
	v_and_b32_e32 v73, 0xff, v22
	global_load_b128 v[22:25], v23, s[4:5]
	v_and_b32_e32 v74, 0xffff, v26
	v_and_b32_e32 v14, 0xffff, v14
	v_mul_u32_u24_e32 v79, 0xe38f, v53
	v_lshlrev_b32_e32 v32, 4, v73
	s_clause 0x1
	global_load_b128 v[26:29], v27, s[4:5]
	global_load_b128 v[32:35], v32, s[4:5]
	v_lshlrev_b32_e32 v37, 4, v74
	v_mul_u32_u24_e32 v14, 36, v14
	v_and_b32_e32 v69, 0xffff, v69
	v_lshlrev_b32_e32 v68, 2, v68
	v_and_b32_e32 v67, 0xffff, v67
	global_load_b128 v[37:40], v37, s[4:5]
	ds_load_2addr_b32 v[52:53], v45 offset1:63
	ds_load_2addr_b32 v[54:55], v13 offset0:124 offset1:187
	ds_load_2addr_b32 v[56:57], v17 offset0:118 offset1:181
	ds_load_2addr_b32 v[58:59], v36 offset0:122 offset1:185
	ds_load_2addr_b32 v[60:61], v45 offset0:126 offset1:189
	ds_load_2addr_b32 v[62:63], v30 offset0:116 offset1:179
	ds_load_2addr_b32 v[64:65], v31 offset0:120 offset1:183
	ds_load_b32 v80, v45 offset:3528
	v_and_b32_e32 v66, 0xffff, v66
	v_mul_u32_u24_e32 v69, 36, v69
	v_add3_u32 v14, 0, v14, v68
	v_lshlrev_b32_e32 v68, 2, v71
	v_lshlrev_b32_e32 v71, 2, v72
	v_mul_u32_u24_e32 v66, 36, v66
	v_lshlrev_b32_e32 v72, 2, v73
	v_mul_u32_u24_e32 v67, 36, v67
	v_mul_lo_u16 v77, v12, 57
	v_lshrrev_b16 v78, 9, v78
	v_add3_u32 v66, 0, v66, v68
	v_add3_u32 v68, 0, v69, v72
	;; [unrolled: 1-line block ×3, first 2 shown]
	v_lshrrev_b16 v77, 9, v77
	v_mul_lo_u16 v81, v75, 9
	v_mul_lo_u16 v84, v78, 9
	v_lshrrev_b32_e32 v79, 19, v79
	v_mul_u32_u24_e32 v70, 36, v70
	v_mul_lo_u16 v83, v77, 9
	v_sub_nc_u16 v81, v0, v81
	v_sub_nc_u16 v16, v16, v84
	v_mul_lo_u16 v85, v79, 9
	global_wb scope:SCOPE_SE
	s_wait_loadcnt_dscnt 0x0
	v_sub_nc_u16 v83, v44, v83
	s_barrier_signal -1
	s_barrier_wait -1
	global_inv scope:SCOPE_SE
	v_dual_mul_f32 v69, v55, v19 :: v_dual_and_b32 v16, 0xff, v16
	v_mul_lo_u16 v76, v10, 57
	v_mul_f32_e32 v19, v5, v19
	v_mul_f32_e32 v71, v56, v21
	;; [unrolled: 1-line block ×3, first 2 shown]
	v_fma_f32 v5, v5, v18, -v69
	v_lshrrev_b16 v76, 9, v76
	v_fmac_f32_e32 v19, v55, v18
	v_fma_f32 v18, v41, v20, -v71
	v_fmac_f32_e32 v21, v56, v20
	v_mul_lo_u16 v10, v10, 19
	v_mul_lo_u16 v82, v76, 9
	v_dual_mul_f32 v20, v58, v23 :: v_dual_mul_f32 v41, v57, v25
	v_mul_f32_e32 v25, v42, v25
	v_mul_f32_e32 v23, v46, v23
	s_delay_alu instid0(VALU_DEP_4) | instskip(NEXT) | instid1(VALU_DEP_4)
	v_sub_nc_u16 v82, v1, v82
	v_fma_f32 v20, v46, v22, -v20
	v_fma_f32 v41, v42, v24, -v41
	v_dual_mul_f32 v55, v59, v27 :: v_dual_mul_f32 v56, v62, v29
	s_delay_alu instid0(VALU_DEP_4)
	v_dual_mul_f32 v29, v48, v29 :: v_dual_and_b32 v82, 0xff, v82
	v_fmac_f32_e32 v23, v58, v22
	v_mul_f32_e32 v69, v64, v33
	v_mul_f32_e32 v71, v63, v35
	;; [unrolled: 1-line block ×3, first 2 shown]
	v_fmac_f32_e32 v29, v62, v28
	v_dual_fmac_f32 v25, v57, v24 :: v_dual_mul_f32 v24, v51, v38
	v_mul_f32_e32 v42, v65, v38
	v_mul_f32_e32 v38, v80, v40
	v_fma_f32 v40, v47, v26, -v55
	v_fmac_f32_e32 v22, v80, v39
	v_dual_fmac_f32 v24, v65, v37 :: v_dual_mul_f32 v27, v47, v27
	v_mul_f32_e32 v33, v50, v33
	v_mul_f32_e32 v35, v49, v35
	v_add_f32_e32 v47, v8, v40
	s_delay_alu instid0(VALU_DEP_4)
	v_dual_add_f32 v62, v54, v24 :: v_dual_fmac_f32 v27, v59, v26
	v_fma_f32 v26, v48, v28, -v56
	v_fma_f32 v28, v50, v32, -v69
	v_sub_f32_e32 v59, v24, v22
	v_add_f32_e32 v24, v24, v22
	v_dual_fmac_f32 v33, v64, v32 :: v_dual_add_f32 v22, v62, v22
	v_fma_f32 v32, v49, v34, -v71
	v_lshlrev_b32_e32 v73, 2, v74
	v_lshlrev_b32_e32 v74, 4, v82
	v_dual_add_f32 v48, v40, v26 :: v_dual_and_b32 v83, 0xff, v83
	v_add_f32_e32 v56, v61, v33
	v_dual_fmac_f32 v54, -0.5, v24 :: v_dual_and_b32 v81, 0xff, v81
	s_delay_alu instid0(VALU_DEP_3) | instskip(SKIP_4) | instid1(VALU_DEP_4)
	v_fma_f32 v8, -0.5, v48, v8
	v_fmac_f32_e32 v35, v63, v34
	v_fma_f32 v34, v51, v37, -v42
	v_fma_f32 v37, v43, v39, -v38
	v_sub_f32_e32 v42, v19, v21
	v_dual_add_f32 v38, v6, v5 :: v_dual_sub_f32 v55, v33, v35
	s_delay_alu instid0(VALU_DEP_3) | instskip(SKIP_1) | instid1(VALU_DEP_2)
	v_dual_add_f32 v33, v33, v35 :: v_dual_add_f32 v58, v34, v37
	v_dual_add_f32 v57, v4, v34 :: v_dual_add_f32 v46, v53, v23
	v_dual_add_f32 v50, v60, v27 :: v_dual_fmac_f32 v61, -0.5, v33
	s_delay_alu instid0(VALU_DEP_3)
	v_dual_fmac_f32 v4, -0.5, v58 :: v_dual_sub_f32 v49, v27, v29
	v_add_f32_e32 v43, v52, v19
	v_add_f32_e32 v19, v19, v21
	;; [unrolled: 1-line block ×3, first 2 shown]
	v_sub_f32_e32 v34, v34, v37
	v_mul_lo_u16 v11, v11, 19
	v_add_f32_e32 v21, v43, v21
	v_fma_f32 v19, -0.5, v19, v52
	v_sub_f32_e32 v43, v23, v25
	v_dual_add_f32 v39, v5, v18 :: v_dual_add_f32 v52, v28, v32
	v_add_f32_e32 v23, v23, v25
	v_dual_add_f32 v51, v9, v28 :: v_dual_lshlrev_b32 v58, 2, v81
	s_delay_alu instid0(VALU_DEP_3)
	v_fma_f32 v6, -0.5, v39, v6
	v_add_f32_e32 v39, v20, v41
	v_fmac_f32_e32 v9, -0.5, v52
	v_dual_sub_f32 v5, v5, v18 :: v_dual_sub_f32 v28, v28, v32
	v_add_f32_e32 v18, v38, v18
	v_add_f32_e32 v38, v7, v20
	v_dual_sub_f32 v20, v20, v41 :: v_dual_fmac_f32 v53, -0.5, v23
	v_fma_f32 v27, -0.5, v27, v60
	v_dual_add_f32 v33, v57, v37 :: v_dual_lshlrev_b32 v60, 2, v83
	v_fmamk_f32 v37, v55, 0x3f5db3d7, v9
	v_fmac_f32_e32 v9, 0xbf5db3d7, v55
	v_fmamk_f32 v55, v34, 0xbf5db3d7, v54
	v_dual_fmac_f32 v54, 0x3f5db3d7, v34 :: v_dual_fmac_f32 v7, -0.5, v39
	v_dual_sub_f32 v40, v40, v26 :: v_dual_fmamk_f32 v63, v42, 0x3f5db3d7, v6
	v_fmamk_f32 v52, v28, 0xbf5db3d7, v61
	v_dual_fmac_f32 v61, 0x3f5db3d7, v28 :: v_dual_fmamk_f32 v28, v59, 0x3f5db3d7, v4
	v_fmamk_f32 v64, v5, 0xbf5db3d7, v19
	v_fmac_f32_e32 v6, 0xbf5db3d7, v42
	v_fmac_f32_e32 v19, 0x3f5db3d7, v5
	v_dual_add_f32 v5, v38, v41 :: v_dual_fmamk_f32 v24, v43, 0x3f5db3d7, v7
	v_lshrrev_b16 v80, 9, v11
	v_mul_lo_u16 v11, v12, 19
	v_dual_add_f32 v23, v47, v26 :: v_dual_and_b32 v12, 0xffff, v75
	v_add_f32_e32 v26, v50, v29
	v_add_f32_e32 v25, v46, v25
	v_dual_add_f32 v29, v51, v32 :: v_dual_add_f32 v32, v56, v35
	v_fmamk_f32 v35, v20, 0xbf5db3d7, v53
	v_fmac_f32_e32 v7, 0xbf5db3d7, v43
	v_dual_fmac_f32 v53, 0x3f5db3d7, v20 :: v_dual_fmamk_f32 v20, v49, 0x3f5db3d7, v8
	v_dual_fmac_f32 v8, 0xbf5db3d7, v49 :: v_dual_fmamk_f32 v43, v40, 0xbf5db3d7, v27
	v_add3_u32 v70, 0, v70, v73
	v_fmac_f32_e32 v27, 0x3f5db3d7, v40
	v_fmac_f32_e32 v4, 0xbf5db3d7, v59
	ds_store_2addr_b32 v14, v18, v63 offset1:3
	ds_store_b32 v14, v6 offset:24
	ds_store_2addr_b32 v66, v5, v24 offset1:3
	ds_store_b32 v66, v7 offset:24
	;; [unrolled: 2-line block ×5, first 2 shown]
	global_wb scope:SCOPE_SE
	s_wait_dscnt 0x0
	s_barrier_signal -1
	s_barrier_wait -1
	global_inv scope:SCOPE_SE
	ds_load_2addr_b32 v[8:9], v45 offset1:63
	ds_load_2addr_b32 v[37:38], v13 offset0:124 offset1:187
	ds_load_2addr_b32 v[39:40], v17 offset0:118 offset1:181
	;; [unrolled: 1-line block ×6, first 2 shown]
	ds_load_b32 v62, v45 offset:3528
	global_wb scope:SCOPE_SE
	s_wait_dscnt 0x0
	s_barrier_signal -1
	s_barrier_wait -1
	global_inv scope:SCOPE_SE
	ds_store_2addr_b32 v14, v21, v64 offset1:3
	ds_store_b32 v14, v19 offset:24
	ds_store_2addr_b32 v66, v25, v35 offset1:3
	ds_store_b32 v66, v53 offset:24
	;; [unrolled: 2-line block ×5, first 2 shown]
	v_sub_nc_u16 v14, v15, v85
	v_lshlrev_b32_e32 v15, 4, v83
	v_lshlrev_b32_e32 v84, 4, v81
	global_wb scope:SCOPE_SE
	s_wait_dscnt 0x0
	s_barrier_signal -1
	v_and_b32_e32 v43, 0xffff, v14
	v_lshlrev_b32_e32 v14, 4, v16
	s_barrier_wait -1
	global_inv scope:SCOPE_SE
	s_clause 0x1
	global_load_b128 v[18:21], v74, s[4:5] offset:48
	global_load_b128 v[22:25], v15, s[4:5] offset:48
	v_lshlrev_b32_e32 v15, 4, v43
	s_clause 0x2
	global_load_b128 v[4:7], v84, s[4:5] offset:48
	global_load_b128 v[26:29], v14, s[4:5] offset:48
	;; [unrolled: 1-line block ×3, first 2 shown]
	v_lshrrev_b16 v84, 9, v10
	v_and_b32_e32 v10, 0xffff, v76
	v_mul_lo_u16 v14, v80, 27
	v_lshrrev_b16 v85, 9, v11
	v_and_b32_e32 v11, 0xffff, v77
	v_mul_lo_u16 v52, v84, 27
	v_and_b32_e32 v15, 0xffff, v78
	v_mul_u32_u24_e32 v54, 0x6c, v10
	v_mul_u32_u24_e32 v12, 0x6c, v12
	v_sub_nc_u16 v14, v0, v14
	v_sub_nc_u16 v10, v1, v52
	v_mul_u32_u24_e32 v56, 0x6c, v79
	v_mul_u32_u24_e32 v55, 0x6c, v11
	;; [unrolled: 1-line block ×3, first 2 shown]
	v_lshlrev_b32_e32 v16, 2, v16
	v_and_b32_e32 v87, 0xff, v10
	ds_load_2addr_b32 v[10:11], v13 offset0:124 offset1:187
	v_lshlrev_b32_e32 v59, 2, v82
	v_lshlrev_b32_e32 v43, 2, v43
	v_and_b32_e32 v86, 0xff, v14
	ds_load_2addr_b32 v[14:15], v17 offset0:118 offset1:181
	ds_load_2addr_b32 v[52:53], v36 offset0:122 offset1:185
	v_add3_u32 v12, 0, v12, v58
	v_add3_u32 v65, 0, v54, v59
	;; [unrolled: 1-line block ×4, first 2 shown]
	ds_load_2addr_b32 v[54:55], v30 offset0:116 offset1:179
	v_add3_u32 v43, 0, v56, v43
	ds_load_2addr_b32 v[56:57], v31 offset0:120 offset1:183
	ds_load_2addr_b32 v[58:59], v45 offset1:63
	ds_load_2addr_b32 v[60:61], v45 offset0:126 offset1:189
	ds_load_b32 v66, v45 offset:3528
	v_lshlrev_b32_e32 v64, 5, v86
	global_wb scope:SCOPE_SE
	s_wait_loadcnt_dscnt 0x0
	s_barrier_signal -1
	s_barrier_wait -1
	global_inv scope:SCOPE_SE
	v_mul_lo_u16 v63, v85, 27
	v_mul_f32_e32 v70, v15, v21
	v_mul_f32_e32 v21, v40, v21
	;; [unrolled: 1-line block ×3, first 2 shown]
	v_dual_mul_f32 v25, v48, v25 :: v_dual_mul_f32 v68, v14, v7
	v_mul_f32_e32 v7, v39, v7
	v_mul_f32_e32 v75, v57, v33
	v_dual_mul_f32 v33, v51, v33 :: v_dual_mul_f32 v76, v66, v35
	v_mul_f32_e32 v35, v62, v35
	v_fmac_f32_e32 v21, v15, v20
	v_fma_f32 v15, v48, v24, -v72
	s_delay_alu instid0(VALU_DEP_4) | instskip(SKIP_3) | instid1(VALU_DEP_4)
	v_fmac_f32_e32 v33, v57, v32
	v_fmac_f32_e32 v25, v54, v24
	;; [unrolled: 1-line block ×3, first 2 shown]
	v_fma_f32 v24, v62, v34, -v76
	v_dual_mul_f32 v73, v56, v27 :: v_dual_add_f32 v66, v10, v33
	v_mul_f32_e32 v27, v50, v27
	s_delay_alu instid0(VALU_DEP_4) | instskip(SKIP_4) | instid1(VALU_DEP_4)
	v_sub_f32_e32 v62, v33, v35
	v_dual_add_f32 v33, v33, v35 :: v_dual_mul_f32 v74, v55, v29
	v_mul_f32_e32 v29, v49, v29
	v_mul_f32_e32 v67, v11, v5
	;; [unrolled: 1-line block ×3, first 2 shown]
	v_dual_fmac_f32 v10, -0.5, v33 :: v_dual_mul_f32 v71, v53, v23
	v_fmac_f32_e32 v7, v14, v6
	v_fmac_f32_e32 v27, v56, v26
	;; [unrolled: 1-line block ×4, first 2 shown]
	v_fma_f32 v14, v42, v22, -v71
	v_fma_f32 v11, v40, v20, -v70
	;; [unrolled: 1-line block ×3, first 2 shown]
	v_dual_sub_f32 v54, v27, v29 :: v_dual_mul_f32 v23, v42, v23
	s_delay_alu instid0(VALU_DEP_4)
	v_add_f32_e32 v48, v46, v14
	v_add_f32_e32 v49, v14, v15
	v_sub_f32_e32 v14, v14, v15
	v_mul_f32_e32 v69, v52, v19
	v_mul_f32_e32 v19, v41, v19
	v_fma_f32 v38, v38, v4, -v67
	v_fma_f32 v4, v39, v6, -v68
	v_fmac_f32_e32 v23, v53, v22
	v_fma_f32 v6, v41, v18, -v69
	v_fmac_f32_e32 v19, v52, v18
	v_fma_f32 v22, v51, v32, -v75
	v_fma_f32 v18, v50, v26, -v73
	v_add_f32_e32 v28, v38, v4
	v_sub_f32_e32 v32, v5, v7
	v_dual_add_f32 v34, v58, v5 :: v_dual_add_f32 v5, v5, v7
	v_dual_add_f32 v40, v6, v11 :: v_dual_sub_f32 v41, v19, v21
	v_add_f32_e32 v42, v59, v19
	v_add_f32_e32 v19, v19, v21
	v_dual_sub_f32 v50, v23, v25 :: v_dual_add_f32 v51, v60, v23
	v_add_f32_e32 v23, v23, v25
	v_add_f32_e32 v55, v61, v27
	;; [unrolled: 1-line block ×3, first 2 shown]
	v_dual_add_f32 v57, v22, v24 :: v_dual_add_f32 v26, v8, v38
	v_sub_f32_e32 v38, v38, v4
	v_add_f32_e32 v53, v18, v20
	v_fma_f32 v8, -0.5, v28, v8
	v_fma_f32 v5, -0.5, v5, v58
	v_dual_add_f32 v39, v9, v6 :: v_dual_sub_f32 v6, v6, v11
	v_fmac_f32_e32 v9, -0.5, v40
	v_dual_fmac_f32 v59, -0.5, v19 :: v_dual_add_f32 v52, v47, v18
	v_sub_f32_e32 v18, v18, v20
	v_add_f32_e32 v56, v37, v22
	v_fma_f32 v19, -0.5, v49, v46
	v_fma_f32 v23, -0.5, v23, v60
	v_fmac_f32_e32 v61, -0.5, v27
	v_dual_fmac_f32 v37, -0.5, v57 :: v_dual_sub_f32 v22, v22, v24
	v_add_f32_e32 v4, v26, v4
	v_add_f32_e32 v7, v34, v7
	v_fmac_f32_e32 v47, -0.5, v53
	v_add_f32_e32 v26, v55, v29
	v_fmamk_f32 v28, v32, 0x3f5db3d7, v8
	v_dual_fmamk_f32 v29, v38, 0xbf5db3d7, v5 :: v_dual_fmac_f32 v8, 0xbf5db3d7, v32
	v_fmac_f32_e32 v5, 0x3f5db3d7, v38
	v_add_f32_e32 v11, v39, v11
	v_dual_add_f32 v21, v42, v21 :: v_dual_fmamk_f32 v32, v41, 0x3f5db3d7, v9
	v_fmamk_f32 v33, v6, 0xbf5db3d7, v59
	v_fmac_f32_e32 v9, 0xbf5db3d7, v41
	v_fmac_f32_e32 v59, 0x3f5db3d7, v6
	v_add_f32_e32 v15, v48, v15
	v_dual_add_f32 v25, v51, v25 :: v_dual_add_f32 v20, v52, v20
	v_add_f32_e32 v27, v66, v35
	v_fmamk_f32 v6, v50, 0x3f5db3d7, v19
	v_fmac_f32_e32 v19, 0xbf5db3d7, v50
	v_fmamk_f32 v34, v14, 0xbf5db3d7, v23
	v_fmamk_f32 v35, v18, 0xbf5db3d7, v61
	v_fmac_f32_e32 v61, 0x3f5db3d7, v18
	v_fmamk_f32 v18, v62, 0x3f5db3d7, v37
	v_dual_add_f32 v24, v56, v24 :: v_dual_fmac_f32 v23, 0x3f5db3d7, v14
	v_fmamk_f32 v14, v54, 0x3f5db3d7, v47
	v_fmac_f32_e32 v47, 0xbf5db3d7, v54
	v_dual_fmac_f32 v37, 0xbf5db3d7, v62 :: v_dual_fmamk_f32 v38, v22, 0xbf5db3d7, v10
	v_fmac_f32_e32 v10, 0x3f5db3d7, v22
	ds_store_2addr_b32 v12, v4, v28 offset1:9
	ds_store_b32 v12, v8 offset:72
	ds_store_2addr_b32 v65, v11, v32 offset1:9
	ds_store_b32 v65, v9 offset:72
	;; [unrolled: 2-line block ×5, first 2 shown]
	global_wb scope:SCOPE_SE
	s_wait_dscnt 0x0
	s_barrier_signal -1
	s_barrier_wait -1
	global_inv scope:SCOPE_SE
	ds_load_2addr_b32 v[8:9], v45 offset1:63
	ds_load_2addr_b32 v[66:67], v45 offset0:126 offset1:189
	ds_load_2addr_b32 v[68:69], v36 offset0:122 offset1:185
	;; [unrolled: 1-line block ×6, first 2 shown]
	ds_load_b32 v46, v45 offset:3528
	global_wb scope:SCOPE_SE
	s_wait_dscnt 0x0
	s_barrier_signal -1
	s_barrier_wait -1
	global_inv scope:SCOPE_SE
	ds_store_2addr_b32 v12, v7, v29 offset1:9
	ds_store_b32 v12, v5 offset:72
	ds_store_2addr_b32 v65, v21, v33 offset1:9
	ds_store_b32 v65, v59 offset:72
	;; [unrolled: 2-line block ×5, first 2 shown]
	global_wb scope:SCOPE_SE
	s_wait_dscnt 0x0
	s_barrier_signal -1
	s_barrier_wait -1
	global_inv scope:SCOPE_SE
	s_clause 0x1
	global_load_b128 v[4:7], v64, s[4:5] offset:192
	global_load_b128 v[18:21], v64, s[4:5] offset:208
	v_sub_nc_u16 v10, v44, v63
	v_lshlrev_b32_e32 v11, 5, v87
	v_and_b32_e32 v14, 0xffff, v85
	v_lshlrev_b32_e32 v35, 2, v87
	v_add_nc_u32_e32 v16, 0xc00, v45
	v_and_b32_e32 v10, 0xff, v10
	global_load_b128 v[22:25], v11, s[4:5] offset:192
	v_mul_u32_u24_e32 v14, 0x21c, v14
	v_lshlrev_b32_e32 v12, 5, v10
	s_clause 0x2
	global_load_b128 v[26:29], v11, s[4:5] offset:208
	global_load_b128 v[47:50], v12, s[4:5] offset:192
	global_load_b128 v[62:65], v12, s[4:5] offset:208
	v_and_b32_e32 v11, 0xffff, v80
	v_and_b32_e32 v12, 0xffff, v84
	ds_load_2addr_b32 v[78:79], v36 offset0:122 offset1:185
	ds_load_2addr_b32 v[82:83], v30 offset0:116 offset1:179
	;; [unrolled: 1-line block ×3, first 2 shown]
	v_mul_u32_u24_e32 v15, 0x21c, v11
	v_mul_u32_u24_e32 v32, 0x21c, v12
	ds_load_2addr_b32 v[11:12], v45 offset0:126 offset1:189
	v_lshlrev_b32_e32 v10, 2, v10
	ds_load_2addr_b32 v[84:85], v13 offset0:124 offset1:187
	s_wait_loadcnt 0x5
	v_mul_f32_e32 v54, v67, v5
	s_wait_loadcnt 0x4
	v_mul_f32_e32 v52, v72, v21
	s_wait_dscnt 0x1
	v_mul_f32_e32 v43, v12, v5
	v_mul_f32_e32 v5, v78, v7
	;; [unrolled: 1-line block ×3, first 2 shown]
	v_fmac_f32_e32 v54, v12, v4
	v_dual_fmac_f32 v52, v82, v20 :: v_dual_mul_f32 v7, v81, v19
	s_delay_alu instid0(VALU_DEP_4) | instskip(NEXT) | instid1(VALU_DEP_4)
	v_fma_f32 v59, v68, v6, -v5
	v_fmac_f32_e32 v56, v78, v6
	v_fma_f32 v58, v67, v4, -v43
	s_delay_alu instid0(VALU_DEP_4)
	v_dual_sub_f32 v6, v54, v52 :: v_dual_mul_f32 v51, v71, v19
	v_fma_f32 v60, v71, v18, -v7
	s_wait_loadcnt 0x2
	v_mul_f32_e32 v42, v73, v29
	v_add_f32_e32 v4, v8, v58
	s_wait_loadcnt 0x1
	v_mul_f32_e32 v38, v70, v50
	v_fmac_f32_e32 v51, v81, v18
	v_add_f32_e32 v5, v59, v60
	s_wait_loadcnt 0x0
	v_dual_mul_f32 v39, v77, v63 :: v_dual_mul_f32 v88, v80, v50
	v_fmac_f32_e32 v38, v80, v49
	v_sub_f32_e32 v7, v56, v51
	v_mul_f32_e32 v19, v82, v21
	v_fma_f32 v5, -0.5, v5, v8
	s_wait_dscnt 0x0
	v_mul_f32_e32 v21, v84, v23
	v_mul_f32_e32 v37, v75, v48
	v_fmac_f32_e32 v42, v83, v28
	v_fma_f32 v61, v72, v20, -v19
	v_fma_f32 v43, v70, v49, -v88
	v_dual_sub_f32 v12, v58, v59 :: v_dual_sub_f32 v19, v59, v58
	v_mul_f32_e32 v40, v69, v25
	s_delay_alu instid0(VALU_DEP_4) | instskip(SKIP_2) | instid1(VALU_DEP_4)
	v_add_f32_e32 v18, v58, v61
	v_dual_sub_f32 v20, v60, v61 :: v_dual_fmac_f32 v37, v85, v47
	v_fma_f32 v55, v74, v22, -v21
	v_fmac_f32_e32 v40, v79, v24
	s_delay_alu instid0(VALU_DEP_4)
	v_fma_f32 v8, -0.5, v18, v8
	v_lshlrev_b32_e32 v33, 2, v86
	ds_load_2addr_b32 v[86:87], v17 offset0:118 offset1:181
	v_add_f32_e32 v21, v9, v55
	v_add_f32_e32 v71, v4, v59
	v_add3_u32 v34, 0, v15, v33
	v_add3_u32 v33, 0, v32, v35
	;; [unrolled: 1-line block ×3, first 2 shown]
	ds_load_2addr_b32 v[14:15], v45 offset1:63
	ds_load_b32 v13, v45 offset:3528
	v_mul_f32_e32 v10, v74, v23
	v_mul_f32_e32 v35, v46, v65
	global_wb scope:SCOPE_SE
	s_wait_dscnt 0x0
	s_barrier_signal -1
	s_barrier_wait -1
	v_fmac_f32_e32 v10, v84, v22
	global_inv scope:SCOPE_SE
	v_mul_f32_e32 v89, v87, v63
	v_fmac_f32_e32 v39, v87, v62
	v_mul_f32_e32 v63, v13, v65
	v_fmac_f32_e32 v35, v13, v64
	v_sub_f32_e32 v13, v61, v60
	s_delay_alu instid0(VALU_DEP_3) | instskip(SKIP_1) | instid1(VALU_DEP_3)
	v_fma_f32 v49, v46, v64, -v63
	v_dual_sub_f32 v64, v38, v39 :: v_dual_mul_f32 v23, v79, v25
	v_dual_add_f32 v12, v12, v13 :: v_dual_mul_f32 v25, v86, v27
	v_add_f32_e32 v13, v19, v20
	v_mul_f32_e32 v41, v76, v27
	s_delay_alu instid0(VALU_DEP_4)
	v_fma_f32 v50, v69, v24, -v23
	v_sub_f32_e32 v23, v10, v42
	v_mul_f32_e32 v27, v83, v29
	v_fma_f32 v53, v76, v26, -v25
	v_sub_f32_e32 v63, v37, v35
	v_mul_f32_e32 v29, v85, v48
	v_add_f32_e32 v18, v21, v50
	v_fma_f32 v57, v73, v28, -v27
	v_sub_f32_e32 v28, v50, v55
	v_add_f32_e32 v22, v50, v53
	v_fma_f32 v48, v75, v47, -v29
	v_sub_f32_e32 v25, v55, v50
	v_sub_f32_e32 v29, v53, v57
	v_add_f32_e32 v27, v55, v57
	v_fma_f32 v19, -0.5, v22, v9
	v_add_f32_e32 v46, v66, v48
	v_add_f32_e32 v68, v48, v49
	;; [unrolled: 1-line block ×3, first 2 shown]
	v_fmamk_f32 v29, v7, 0xbf737871, v8
	v_fmac_f32_e32 v8, 0x3f737871, v7
	v_add_f32_e32 v22, v46, v43
	v_fmamk_f32 v46, v23, 0x3f737871, v19
	v_fmac_f32_e32 v9, -0.5, v27
	s_delay_alu instid0(VALU_DEP_4) | instskip(SKIP_3) | instid1(VALU_DEP_4)
	v_dual_sub_f32 v65, v48, v43 :: v_dual_fmac_f32 v8, 0xbf167918, v6
	v_fmamk_f32 v28, v6, 0x3f737871, v5
	v_fmac_f32_e32 v5, 0xbf737871, v6
	v_fmac_f32_e32 v19, 0xbf737871, v23
	v_dual_sub_f32 v69, v43, v48 :: v_dual_fmac_f32 v8, 0x3e9e377a, v13
	v_dual_fmac_f32 v41, v86, v26 :: v_dual_sub_f32 v26, v57, v53
	v_dual_add_f32 v27, v71, v60 :: v_dual_fmac_f32 v28, 0x3f167918, v7
	s_delay_alu instid0(VALU_DEP_2) | instskip(NEXT) | instid1(VALU_DEP_3)
	v_dual_fmac_f32 v29, 0x3f167918, v6 :: v_dual_sub_f32 v24, v40, v41
	v_dual_add_f32 v20, v25, v26 :: v_dual_fmac_f32 v5, 0xbf167918, v7
	v_add_f32_e32 v18, v18, v53
	s_delay_alu instid0(VALU_DEP_3) | instskip(SKIP_3) | instid1(VALU_DEP_4)
	v_dual_add_f32 v27, v27, v61 :: v_dual_fmac_f32 v46, 0x3f167918, v24
	v_fmac_f32_e32 v19, 0xbf167918, v24
	v_dual_fmac_f32 v28, 0x3e9e377a, v12 :: v_dual_fmac_f32 v29, 0x3e9e377a, v13
	v_fmac_f32_e32 v5, 0x3e9e377a, v12
	v_fmac_f32_e32 v46, 0x3e9e377a, v20
	v_fma_f32 v47, v77, v62, -v89
	v_dual_add_f32 v6, v18, v57 :: v_dual_fmac_f32 v19, 0x3e9e377a, v20
	s_delay_alu instid0(VALU_DEP_2) | instskip(SKIP_2) | instid1(VALU_DEP_3)
	v_add_f32_e32 v62, v43, v47
	v_dual_sub_f32 v67, v49, v47 :: v_dual_sub_f32 v70, v47, v49
	v_add_f32_e32 v22, v22, v47
	v_fma_f32 v4, -0.5, v62, v66
	v_fmac_f32_e32 v66, -0.5, v68
	v_fmamk_f32 v62, v24, 0xbf737871, v9
	v_fmac_f32_e32 v9, 0x3f737871, v24
	v_add_f32_e32 v25, v65, v67
	v_fmamk_f32 v65, v63, 0x3f737871, v4
	v_fmac_f32_e32 v4, 0xbf737871, v63
	v_fmamk_f32 v67, v64, 0xbf737871, v66
	v_fmac_f32_e32 v66, 0x3f737871, v64
	v_fmac_f32_e32 v62, 0x3f167918, v23
	v_dual_fmac_f32 v9, 0xbf167918, v23 :: v_dual_add_f32 v26, v69, v70
	v_fmac_f32_e32 v65, 0x3f167918, v64
	s_delay_alu instid0(VALU_DEP_4)
	v_fmac_f32_e32 v66, 0xbf167918, v63
	v_fmac_f32_e32 v4, 0xbf167918, v64
	;; [unrolled: 1-line block ×5, first 2 shown]
	v_add_f32_e32 v7, v22, v49
	v_fmac_f32_e32 v65, 0x3e9e377a, v25
	v_dual_fmac_f32 v4, 0x3e9e377a, v25 :: v_dual_fmac_f32 v67, 0x3e9e377a, v26
	v_fmac_f32_e32 v66, 0x3e9e377a, v26
	ds_store_2addr_b32 v34, v27, v28 offset1:27
	ds_store_2addr_b32 v34, v29, v8 offset0:54 offset1:81
	ds_store_b32 v34, v5 offset:432
	ds_store_2addr_b32 v33, v6, v46 offset1:27
	ds_store_2addr_b32 v33, v62, v9 offset0:54 offset1:81
	ds_store_b32 v33, v19 offset:432
	;; [unrolled: 3-line block ×3, first 2 shown]
	global_wb scope:SCOPE_SE
	s_wait_dscnt 0x0
	s_barrier_signal -1
	s_barrier_wait -1
	global_inv scope:SCOPE_SE
	ds_load_2addr_b32 v[12:13], v45 offset1:63
	ds_load_2addr_b32 v[24:25], v45 offset0:135 offset1:198
	ds_load_2addr_b32 v[18:19], v36 offset0:14 offset1:77
	;; [unrolled: 1-line block ×6, first 2 shown]
                                        ; implicit-def: $vgpr8
                                        ; implicit-def: $vgpr6
                                        ; implicit-def: $vgpr46
	s_and_saveexec_b32 s1, s0
	s_cbranch_execz .LBB0_13
; %bb.12:
	v_add_nc_u32_e32 v4, 0x100, v45
	ds_load_2addr_b32 v[8:9], v31 offset0:12 offset1:147
	ds_load_2addr_b32 v[6:7], v30 offset0:26 offset1:161
	;; [unrolled: 1-line block ×3, first 2 shown]
	ds_load_b32 v46, v45 offset:3744
.LBB0_13:
	s_wait_alu 0xfffe
	s_or_b32 exec_lo, exec_lo, s1
	v_dual_add_f32 v30, v56, v51 :: v_dual_add_f32 v31, v14, v54
	v_dual_sub_f32 v58, v58, v61 :: v_dual_sub_f32 v59, v59, v60
	v_dual_sub_f32 v60, v54, v56 :: v_dual_sub_f32 v61, v52, v51
	s_delay_alu instid0(VALU_DEP_3) | instskip(NEXT) | instid1(VALU_DEP_4)
	v_fma_f32 v30, -0.5, v30, v14
	v_add_f32_e32 v31, v31, v56
	v_add_f32_e32 v62, v54, v52
	v_sub_f32_e32 v54, v56, v54
	v_sub_f32_e32 v50, v50, v53
	s_delay_alu instid0(VALU_DEP_4) | instskip(SKIP_3) | instid1(VALU_DEP_4)
	v_dual_fmamk_f32 v56, v58, 0xbf737871, v30 :: v_dual_add_f32 v31, v31, v51
	v_sub_f32_e32 v51, v51, v52
	v_fma_f32 v14, -0.5, v62, v14
	v_fmac_f32_e32 v30, 0x3f737871, v58
	v_dual_add_f32 v60, v60, v61 :: v_dual_add_f32 v31, v31, v52
	v_sub_f32_e32 v55, v55, v57
	s_delay_alu instid0(VALU_DEP_4)
	v_fmamk_f32 v61, v59, 0x3f737871, v14
	v_fmac_f32_e32 v56, 0xbf167918, v59
	v_fmac_f32_e32 v30, 0x3f167918, v59
	v_add_f32_e32 v51, v54, v51
	v_dual_fmac_f32 v14, 0xbf737871, v59 :: v_dual_sub_f32 v53, v10, v40
	v_fmac_f32_e32 v61, 0xbf167918, v58
	v_fmac_f32_e32 v56, 0x3e9e377a, v60
	v_add_f32_e32 v52, v40, v41
	v_dual_fmac_f32 v30, 0x3e9e377a, v60 :: v_dual_add_f32 v59, v10, v42
	s_delay_alu instid0(VALU_DEP_4) | instskip(NEXT) | instid1(VALU_DEP_3)
	v_dual_add_f32 v54, v15, v10 :: v_dual_fmac_f32 v61, 0x3e9e377a, v51
	v_fma_f32 v52, -0.5, v52, v15
	s_delay_alu instid0(VALU_DEP_3) | instskip(NEXT) | instid1(VALU_DEP_3)
	v_dual_fmac_f32 v14, 0x3f167918, v58 :: v_dual_fmac_f32 v15, -0.5, v59
	v_add_f32_e32 v54, v54, v40
	s_delay_alu instid0(VALU_DEP_3) | instskip(SKIP_1) | instid1(VALU_DEP_3)
	v_dual_sub_f32 v48, v48, v49 :: v_dual_fmamk_f32 v57, v55, 0xbf737871, v52
	v_dual_sub_f32 v58, v42, v41 :: v_dual_add_f32 v49, v37, v35
	v_dual_add_f32 v54, v54, v41 :: v_dual_sub_f32 v41, v41, v42
	s_delay_alu instid0(VALU_DEP_2) | instskip(NEXT) | instid1(VALU_DEP_4)
	v_dual_fmac_f32 v52, 0x3f737871, v55 :: v_dual_add_f32 v53, v53, v58
	v_fmac_f32_e32 v57, 0xbf167918, v50
	v_dual_sub_f32 v40, v40, v10 :: v_dual_sub_f32 v43, v43, v47
	s_delay_alu instid0(VALU_DEP_3)
	v_fmac_f32_e32 v52, 0x3f167918, v50
	global_wb scope:SCOPE_SE
	s_wait_dscnt 0x0
	v_fmac_f32_e32 v57, 0x3e9e377a, v53
	v_add_f32_e32 v40, v40, v41
	s_barrier_signal -1
	v_fmac_f32_e32 v52, 0x3e9e377a, v53
	v_fmamk_f32 v53, v50, 0x3f737871, v15
	v_fmac_f32_e32 v15, 0xbf737871, v50
	s_barrier_wait -1
	global_inv scope:SCOPE_SE
	v_fmac_f32_e32 v53, 0xbf167918, v55
	v_fmac_f32_e32 v15, 0x3f167918, v55
	v_dual_fmac_f32 v14, 0x3e9e377a, v51 :: v_dual_add_f32 v51, v54, v42
	v_add_f32_e32 v54, v38, v39
	s_delay_alu instid0(VALU_DEP_3) | instskip(NEXT) | instid1(VALU_DEP_2)
	v_dual_add_f32 v42, v11, v37 :: v_dual_fmac_f32 v15, 0x3e9e377a, v40
	v_fma_f32 v10, -0.5, v54, v11
	s_delay_alu instid0(VALU_DEP_2) | instskip(SKIP_2) | instid1(VALU_DEP_4)
	v_add_f32_e32 v41, v42, v38
	v_fmac_f32_e32 v11, -0.5, v49
	v_fmac_f32_e32 v53, 0x3e9e377a, v40
	v_dual_sub_f32 v47, v35, v39 :: v_dual_fmamk_f32 v42, v48, 0xbf737871, v10
	s_delay_alu instid0(VALU_DEP_4) | instskip(SKIP_2) | instid1(VALU_DEP_4)
	v_add_f32_e32 v40, v41, v39
	v_dual_sub_f32 v41, v37, v38 :: v_dual_fmac_f32 v10, 0x3f737871, v48
	v_fmamk_f32 v49, v43, 0x3f737871, v11
	v_dual_fmac_f32 v42, 0xbf167918, v43 :: v_dual_sub_f32 v37, v38, v37
	v_sub_f32_e32 v38, v39, v35
	v_fmac_f32_e32 v11, 0xbf737871, v43
	v_add_f32_e32 v39, v41, v47
	v_fmac_f32_e32 v10, 0x3f167918, v43
	v_fmac_f32_e32 v49, 0xbf167918, v48
	v_add_f32_e32 v37, v37, v38
	v_fmac_f32_e32 v11, 0x3f167918, v48
	v_add_f32_e32 v35, v40, v35
	v_fmac_f32_e32 v42, 0x3e9e377a, v39
	s_delay_alu instid0(VALU_DEP_4) | instskip(NEXT) | instid1(VALU_DEP_4)
	v_dual_fmac_f32 v10, 0x3e9e377a, v39 :: v_dual_fmac_f32 v49, 0x3e9e377a, v37
	v_fmac_f32_e32 v11, 0x3e9e377a, v37
	ds_store_2addr_b32 v34, v31, v56 offset1:27
	ds_store_2addr_b32 v34, v61, v14 offset0:54 offset1:81
	ds_store_b32 v34, v30 offset:432
	ds_store_2addr_b32 v33, v51, v57 offset1:27
	ds_store_2addr_b32 v33, v53, v15 offset0:54 offset1:81
	ds_store_b32 v33, v52 offset:432
	;; [unrolled: 3-line block ×3, first 2 shown]
	global_wb scope:SCOPE_SE
	s_wait_dscnt 0x0
	s_barrier_signal -1
	s_barrier_wait -1
	global_inv scope:SCOPE_SE
	ds_load_2addr_b32 v[30:31], v45 offset1:63
	ds_load_2addr_b32 v[34:35], v45 offset0:135 offset1:198
	ds_load_2addr_b32 v[32:33], v36 offset0:14 offset1:77
	;; [unrolled: 1-line block ×6, first 2 shown]
                                        ; implicit-def: $vgpr16
                                        ; implicit-def: $vgpr14
                                        ; implicit-def: $vgpr47
	s_and_saveexec_b32 s1, s0
	s_cbranch_execz .LBB0_15
; %bb.14:
	v_add_nc_u32_e32 v10, 0x100, v45
	v_add_nc_u32_e32 v14, 0x600, v45
	;; [unrolled: 1-line block ×3, first 2 shown]
	ds_load_2addr_b32 v[10:11], v10 offset0:62 offset1:197
	ds_load_2addr_b32 v[16:17], v14 offset0:12 offset1:147
	;; [unrolled: 1-line block ×3, first 2 shown]
	ds_load_b32 v47, v45 offset:3744
.LBB0_15:
	s_wait_alu 0xfffe
	s_or_b32 exec_lo, exec_lo, s1
	s_and_saveexec_b32 s1, vcc_lo
	s_cbranch_execz .LBB0_18
; %bb.16:
	v_mul_u32_u24_e32 v1, 6, v1
	v_mul_u32_u24_e32 v45, 6, v0
	v_add_co_u32 v2, vcc_lo, s8, v2
	s_wait_alu 0xfffd
	v_add_co_ci_u32_e32 v3, vcc_lo, s9, v3, vcc_lo
	v_lshlrev_b32_e32 v1, 3, v1
	s_clause 0x2
	global_load_b128 v[48:51], v1, s[4:5] offset:1056
	global_load_b128 v[52:55], v1, s[4:5] offset:1088
	;; [unrolled: 1-line block ×3, first 2 shown]
	v_lshlrev_b32_e32 v1, 3, v45
	s_clause 0x2
	global_load_b128 v[60:63], v1, s[4:5] offset:1056
	global_load_b128 v[64:67], v1, s[4:5] offset:1088
	;; [unrolled: 1-line block ×3, first 2 shown]
	v_mov_b32_e32 v1, 0
	s_wait_loadcnt_dscnt 0x504
	v_mul_f32_e32 v75, v33, v51
	s_wait_loadcnt_dscnt 0x401
	v_mul_f32_e32 v76, v41, v53
	s_wait_loadcnt 0x3
	v_mul_f32_e32 v74, v37, v57
	v_lshlrev_b64_e32 v[72:73], 3, v[0:1]
	s_wait_loadcnt 0x1
	v_mul_f32_e32 v82, v40, v65
	s_wait_loadcnt 0x0
	v_mul_f32_e32 v80, v36, v69
	v_mul_f32_e32 v69, v20, v69
	v_add_co_u32 v2, vcc_lo, v2, v72
	s_wait_dscnt 0x0
	v_mul_f32_e32 v72, v43, v55
	v_mul_f32_e32 v55, v29, v55
	v_fmac_f32_e32 v69, v36, v68
	v_mul_f32_e32 v81, v32, v63
	v_mul_f32_e32 v78, v42, v67
	v_mul_f32_e32 v65, v22, v65
	v_mul_f32_e32 v63, v18, v63
	v_fma_f32 v22, v22, v64, -v82
	v_fma_f32 v18, v18, v62, -v81
	v_mul_f32_e32 v67, v28, v67
	v_mul_f32_e32 v57, v21, v57
	v_fmac_f32_e32 v65, v40, v64
	s_wait_alu 0xfffd
	v_add_co_ci_u32_e32 v3, vcc_lo, v3, v73, vcc_lo
	v_sub_f32_e32 v40, v18, v22
	v_add_f32_e32 v18, v18, v22
	v_fmac_f32_e32 v67, v42, v66
	v_mul_f32_e32 v77, v34, v61
	v_mul_f32_e32 v61, v24, v61
	v_mul_f32_e32 v73, v39, v59
	v_fmac_f32_e32 v57, v37, v56
	v_mul_f32_e32 v79, v38, v71
	v_fma_f32 v28, v28, v66, -v78
	v_fmac_f32_e32 v61, v34, v60
	v_fmac_f32_e32 v63, v32, v62
	v_mul_f32_e32 v71, v26, v71
	v_fma_f32 v29, v29, v54, -v72
	v_fma_f32 v21, v21, v56, -v74
	v_sub_f32_e32 v22, v61, v67
	v_fma_f32 v24, v24, v60, -v77
	v_mul_f32_e32 v45, v35, v49
	v_mul_f32_e32 v53, v23, v53
	v_fma_f32 v23, v23, v52, -v76
	v_fma_f32 v26, v26, v70, -v79
	;; [unrolled: 1-line block ×3, first 2 shown]
	v_mul_f32_e32 v51, v19, v51
	v_fma_f32 v19, v19, v50, -v75
	v_mul_f32_e32 v49, v25, v49
	v_dual_fmac_f32 v71, v38, v70 :: v_dual_sub_f32 v38, v24, v28
	v_fma_f32 v25, v25, v48, -v45
	v_mul_f32_e32 v59, v27, v59
	v_fma_f32 v27, v27, v58, -v73
	v_sub_f32_e32 v34, v19, v23
	v_add_f32_e32 v42, v71, v69
	s_delay_alu instid0(VALU_DEP_4)
	v_dual_sub_f32 v32, v25, v29 :: v_dual_fmac_f32 v59, v39, v58
	v_sub_f32_e32 v39, v26, v20
	v_add_f32_e32 v24, v24, v28
	v_fmac_f32_e32 v53, v41, v52
	v_add_f32_e32 v20, v26, v20
	v_sub_f32_e32 v26, v71, v69
	v_dual_sub_f32 v28, v63, v65 :: v_dual_fmac_f32 v51, v33, v50
	v_sub_f32_e32 v33, v27, v21
	v_add_f32_e32 v25, v25, v29
	v_add_f32_e32 v21, v27, v21
	v_fmac_f32_e32 v49, v35, v48
	v_add_f32_e32 v19, v19, v23
	v_dual_sub_f32 v45, v32, v33 :: v_dual_sub_f32 v48, v33, v34
	v_dual_add_f32 v33, v33, v34 :: v_dual_sub_f32 v34, v34, v32
	v_dual_sub_f32 v27, v59, v57 :: v_dual_sub_f32 v64, v26, v28
	v_sub_f32_e32 v29, v51, v53
	v_dual_add_f32 v37, v51, v53 :: v_dual_add_f32 v62, v24, v18
	v_sub_f32_e32 v52, v25, v21
	v_sub_f32_e32 v60, v24, v20
	s_delay_alu instid0(VALU_DEP_4) | instskip(SKIP_3) | instid1(VALU_DEP_2)
	v_sub_f32_e32 v56, v27, v29
	v_add_f32_e32 v36, v59, v57
	v_dual_fmac_f32 v55, v43, v54 :: v_dual_add_f32 v54, v25, v19
	v_dual_add_f32 v32, v32, v33 :: v_dual_add_f32 v41, v61, v67
	v_dual_sub_f32 v50, v36, v37 :: v_dual_sub_f32 v23, v49, v55
	v_sub_f32_e32 v61, v20, v18
	v_dual_add_f32 v20, v20, v62 :: v_dual_sub_f32 v53, v21, v19
	v_add_f32_e32 v21, v21, v54
	v_dual_add_f32 v35, v49, v55 :: v_dual_sub_f32 v24, v18, v24
	v_sub_f32_e32 v55, v23, v27
	v_add_f32_e32 v27, v27, v29
	v_sub_f32_e32 v29, v29, v23
	v_add_f32_e32 v18, v13, v21
	v_dual_mul_f32 v62, 0xbf08b237, v64 :: v_dual_sub_f32 v57, v41, v42
	v_mul_f32_e32 v61, 0x3d64c772, v61
	s_delay_alu instid0(VALU_DEP_4)
	v_mul_f32_e32 v54, 0x3f5ff5aa, v29
	v_add_f32_e32 v43, v63, v65
	v_fmamk_f32 v21, v21, 0xbf955555, v18
	v_sub_f32_e32 v63, v22, v26
	v_add_f32_e32 v26, v26, v28
	v_dual_sub_f32 v28, v28, v22 :: v_dual_add_f32 v51, v35, v37
	v_dual_add_f32 v23, v23, v27 :: v_dual_add_f32 v12, v12, v20
	s_delay_alu instid0(VALU_DEP_3) | instskip(SKIP_3) | instid1(VALU_DEP_4)
	v_dual_add_f32 v22, v22, v26 :: v_dual_add_f32 v59, v41, v43
	v_dual_sub_f32 v58, v42, v43 :: v_dual_sub_f32 v41, v43, v41
	v_mul_f32_e32 v43, 0xbf08b237, v48
	v_mul_f32_e32 v48, 0x3d64c772, v50
	v_add_f32_e32 v42, v42, v59
	v_mul_f32_e32 v50, 0x3f4a47b2, v52
	v_dual_mul_f32 v58, 0x3d64c772, v58 :: v_dual_sub_f32 v49, v35, v36
	v_sub_f32_e32 v25, v19, v25
	v_sub_f32_e32 v19, v39, v40
	v_dual_add_f32 v13, v30, v42 :: v_dual_fmamk_f32 v30, v60, 0x3f4a47b2, v61
	v_dual_add_f32 v36, v36, v51 :: v_dual_mul_f32 v51, 0x3d64c772, v53
	s_delay_alu instid0(VALU_DEP_3) | instskip(SKIP_1) | instid1(VALU_DEP_3)
	v_dual_mul_f32 v53, 0xbf08b237, v56 :: v_dual_mul_f32 v56, 0xbf08b237, v19
	v_sub_f32_e32 v35, v37, v35
	v_add_f32_e32 v19, v31, v36
	s_delay_alu instid0(VALU_DEP_4) | instskip(SKIP_2) | instid1(VALU_DEP_3)
	v_fmamk_f32 v31, v52, 0x3f4a47b2, v51
	v_dual_sub_f32 v37, v38, v39 :: v_dual_fmamk_f32 v20, v20, 0xbf955555, v12
	v_dual_add_f32 v39, v39, v40 :: v_dual_sub_f32 v40, v40, v38
	v_add_f32_e32 v31, v31, v21
	v_dual_mul_f32 v27, 0x3f5ff5aa, v34 :: v_dual_mul_f32 v64, 0x3f5ff5aa, v28
	v_mul_f32_e32 v33, 0x3f4a47b2, v49
	s_delay_alu instid0(VALU_DEP_4) | instskip(SKIP_1) | instid1(VALU_DEP_4)
	v_mul_f32_e32 v26, 0x3f5ff5aa, v40
	v_fmamk_f32 v65, v45, 0x3eae86e6, v43
	v_fma_f32 v27, 0xbeae86e6, v45, -v27
	v_fma_f32 v45, 0xbf3bfb3b, v25, -v50
	v_fma_f32 v50, 0xbeae86e6, v55, -v54
	v_fma_f32 v54, 0x3f5ff5aa, v28, -v62
	v_fmamk_f32 v28, v36, 0xbf955555, v19
	v_fmamk_f32 v52, v55, 0x3eae86e6, v53
	v_fma_f32 v34, 0x3f5ff5aa, v34, -v43
	v_fma_f32 v33, 0xbf3bfb3b, v35, -v33
	;; [unrolled: 1-line block ×3, first 2 shown]
	v_fmac_f32_e32 v50, 0x3ee1c552, v23
	v_fmac_f32_e32 v52, 0x3ee1c552, v23
	;; [unrolled: 1-line block ×3, first 2 shown]
	v_fma_f32 v29, 0x3f5ff5aa, v29, -v53
	v_fmac_f32_e32 v54, 0x3ee1c552, v22
	v_fmamk_f32 v49, v49, 0x3f4a47b2, v48
	global_store_b64 v[2:3], v[12:13], off
	v_add_f32_e32 v36, v45, v21
	v_fma_f32 v53, 0xbeae86e6, v63, -v64
	v_sub_f32_e32 v12, v31, v52
	v_fma_f32 v25, 0x3f3bfb3b, v25, -v51
	v_dual_fmamk_f32 v51, v63, 0x3eae86e6, v62 :: v_dual_add_f32 v38, v38, v39
	v_fmamk_f32 v43, v37, 0x3eae86e6, v56
	v_fma_f32 v37, 0xbeae86e6, v37, -v26
	v_fma_f32 v40, 0x3f5ff5aa, v40, -v56
	v_fmac_f32_e32 v65, 0x3ee1c552, v32
	v_fmac_f32_e32 v27, 0x3ee1c552, v32
	;; [unrolled: 1-line block ×3, first 2 shown]
	v_fmamk_f32 v23, v42, 0xbf955555, v13
	v_fmac_f32_e32 v51, 0x3ee1c552, v22
	v_fmac_f32_e32 v53, 0x3ee1c552, v22
	v_mul_f32_e32 v59, 0x3f4a47b2, v60
	v_add_f32_e32 v32, v49, v28
	v_add_f32_e32 v33, v33, v28
	;; [unrolled: 1-line block ×3, first 2 shown]
	v_fmamk_f32 v48, v57, 0x3f4a47b2, v58
	v_dual_add_f32 v42, v30, v20 :: v_dual_mul_f32 v39, 0x3f4a47b2, v57
	v_fmac_f32_e32 v43, 0x3ee1c552, v38
	v_fmac_f32_e32 v37, 0x3ee1c552, v38
	;; [unrolled: 1-line block ×3, first 2 shown]
	s_delay_alu instid0(VALU_DEP_4)
	v_sub_f32_e32 v30, v42, v51
	v_add_f32_e32 v38, v48, v23
	v_fma_f32 v26, 0xbf3bfb3b, v41, -v39
	v_fma_f32 v39, 0xbf3bfb3b, v24, -v59
	v_fma_f32 v41, 0x3f3bfb3b, v41, -v58
	v_fma_f32 v24, 0x3f3bfb3b, v24, -v61
	v_add_f32_e32 v35, v25, v21
	v_add_f32_e32 v45, v26, v23
	;; [unrolled: 1-line block ×3, first 2 shown]
	s_delay_alu instid0(VALU_DEP_4)
	v_dual_add_f32 v41, v41, v23 :: v_dual_add_f32 v48, v24, v20
	v_dual_add_f32 v21, v27, v33 :: v_dual_sub_f32 v20, v36, v50
	v_dual_sub_f32 v27, v33, v27 :: v_dual_add_f32 v26, v50, v36
	v_add_f32_e32 v33, v37, v45
	v_sub_f32_e32 v37, v45, v37
	v_dual_add_f32 v36, v53, v39 :: v_dual_sub_f32 v23, v28, v34
	v_dual_add_f32 v22, v29, v35 :: v_dual_add_f32 v25, v34, v28
	v_dual_sub_f32 v24, v35, v29 :: v_dual_sub_f32 v35, v41, v40
	v_add_f32_e32 v34, v54, v48
	v_add_f32_e32 v13, v65, v32
	v_sub_f32_e32 v29, v32, v65
	v_sub_f32_e32 v32, v39, v53
	v_add_f32_e32 v39, v40, v41
	v_dual_sub_f32 v41, v38, v43 :: v_dual_add_f32 v40, v51, v42
	v_dual_add_f32 v28, v52, v31 :: v_dual_add_f32 v31, v43, v38
	v_sub_f32_e32 v38, v48, v54
	s_clause 0xc
	global_store_b64 v[2:3], v[36:37], off offset:2160
	global_store_b64 v[2:3], v[34:35], off offset:4320
	;; [unrolled: 1-line block ×13, first 2 shown]
	s_and_b32 exec_lo, exec_lo, s0
	s_cbranch_execz .LBB0_18
; %bb.17:
	v_add_nc_u32_e32 v0, -9, v0
	s_delay_alu instid0(VALU_DEP_1) | instskip(NEXT) | instid1(VALU_DEP_1)
	v_cndmask_b32_e64 v0, v0, v44, s0
	v_mul_i32_i24_e32 v0, 6, v0
	s_delay_alu instid0(VALU_DEP_1) | instskip(NEXT) | instid1(VALU_DEP_1)
	v_lshlrev_b64_e32 v[0:1], 3, v[0:1]
	v_add_co_u32 v0, vcc_lo, s4, v0
	s_wait_alu 0xfffd
	s_delay_alu instid0(VALU_DEP_2)
	v_add_co_ci_u32_e32 v1, vcc_lo, s5, v1, vcc_lo
	s_clause 0x2
	global_load_b128 v[18:21], v[0:1], off offset:1056
	global_load_b128 v[22:25], v[0:1], off offset:1072
	;; [unrolled: 1-line block ×3, first 2 shown]
	s_wait_loadcnt 0x2
	v_mul_f32_e32 v1, v5, v19
	v_dual_mul_f32 v0, v11, v19 :: v_dual_mul_f32 v13, v8, v21
	s_wait_loadcnt 0x1
	v_dual_mul_f32 v12, v16, v21 :: v_dual_mul_f32 v19, v17, v23
	s_wait_loadcnt 0x0
	v_mul_f32_e32 v30, v15, v27
	v_fma_f32 v0, v5, v18, -v0
	v_mul_f32_e32 v21, v9, v23
	v_fma_f32 v5, v8, v20, -v12
	v_fma_f32 v8, v9, v22, -v19
	v_mul_f32_e32 v31, v47, v29
	v_mul_f32_e32 v23, v14, v25
	v_fmac_f32_e32 v1, v11, v18
	s_delay_alu instid0(VALU_DEP_3) | instskip(NEXT) | instid1(VALU_DEP_1)
	v_fma_f32 v9, v46, v28, -v31
	v_add_f32_e32 v11, v0, v9
	v_mul_f32_e32 v29, v46, v29
	s_delay_alu instid0(VALU_DEP_1) | instskip(SKIP_2) | instid1(VALU_DEP_3)
	v_dual_sub_f32 v0, v0, v9 :: v_dual_fmac_f32 v29, v47, v28
	v_mul_f32_e32 v27, v7, v27
	v_fma_f32 v7, v7, v26, -v30
	v_add_f32_e32 v12, v1, v29
	v_fmac_f32_e32 v21, v17, v22
	s_delay_alu instid0(VALU_DEP_3) | instskip(SKIP_2) | instid1(VALU_DEP_3)
	v_add_f32_e32 v9, v5, v7
	v_fmac_f32_e32 v13, v16, v20
	v_sub_f32_e32 v5, v5, v7
	v_dual_fmac_f32 v27, v15, v26 :: v_dual_sub_f32 v18, v9, v11
	v_mul_f32_e32 v25, v6, v25
	v_fma_f32 v6, v6, v24, -v23
	s_delay_alu instid0(VALU_DEP_3) | instskip(NEXT) | instid1(VALU_DEP_3)
	v_sub_f32_e32 v7, v13, v27
	v_dual_fmac_f32 v25, v14, v24 :: v_dual_add_f32 v14, v13, v27
	s_delay_alu instid0(VALU_DEP_3) | instskip(NEXT) | instid1(VALU_DEP_2)
	v_dual_add_f32 v13, v8, v6 :: v_dual_sub_f32 v6, v6, v8
	v_add_f32_e32 v15, v21, v25
	s_delay_alu instid0(VALU_DEP_3) | instskip(NEXT) | instid1(VALU_DEP_2)
	v_add_f32_e32 v17, v14, v12
	v_dual_sub_f32 v19, v14, v12 :: v_dual_sub_f32 v12, v12, v15
	s_delay_alu instid0(VALU_DEP_1) | instskip(SKIP_3) | instid1(VALU_DEP_3)
	v_mul_f32_e32 v12, 0x3f4a47b2, v12
	v_sub_f32_e32 v22, v6, v5
	v_dual_add_f32 v20, v6, v5 :: v_dual_sub_f32 v5, v5, v0
	v_sub_f32_e32 v6, v0, v6
	v_mul_f32_e32 v22, 0xbf08b237, v22
	v_sub_f32_e32 v14, v15, v14
	v_sub_f32_e32 v8, v25, v21
	;; [unrolled: 1-line block ×3, first 2 shown]
	s_delay_alu instid0(VALU_DEP_2) | instskip(NEXT) | instid1(VALU_DEP_2)
	v_dual_mul_f32 v24, 0x3f5ff5aa, v5 :: v_dual_add_f32 v21, v8, v7
	v_dual_sub_f32 v23, v8, v7 :: v_dual_sub_f32 v8, v1, v8
	v_dual_add_f32 v16, v9, v11 :: v_dual_sub_f32 v11, v11, v13
	v_sub_f32_e32 v9, v13, v9
	s_delay_alu instid0(VALU_DEP_2) | instskip(NEXT) | instid1(VALU_DEP_3)
	v_add_f32_e32 v13, v13, v16
	v_dual_mul_f32 v11, 0x3f4a47b2, v11 :: v_dual_add_f32 v16, v20, v0
	s_delay_alu instid0(VALU_DEP_3) | instskip(SKIP_1) | instid1(VALU_DEP_4)
	v_mul_f32_e32 v20, 0x3d64c772, v9
	v_sub_f32_e32 v7, v7, v1
	v_add_f32_e32 v0, v4, v13
	s_delay_alu instid0(VALU_DEP_4) | instskip(SKIP_4) | instid1(VALU_DEP_4)
	v_dual_fmamk_f32 v4, v9, 0x3d64c772, v11 :: v_dual_fmamk_f32 v9, v14, 0x3d64c772, v12
	v_add_f32_e32 v15, v15, v17
	v_add_f32_e32 v17, v21, v1
	v_fma_f32 v11, 0xbf3bfb3b, v18, -v11
	v_fma_f32 v12, 0xbf3bfb3b, v19, -v12
	v_add_f32_e32 v1, v10, v15
	v_fma_f32 v10, 0x3f3bfb3b, v18, -v20
	v_fma_f32 v20, 0x3f5ff5aa, v5, -v22
	v_fmamk_f32 v5, v13, 0xbf955555, v0
	v_fmamk_f32 v18, v6, 0x3eae86e6, v22
	v_fma_f32 v22, 0xbeae86e6, v6, -v24
	v_fmamk_f32 v6, v15, 0xbf955555, v1
	v_fmac_f32_e32 v20, 0x3ee1c552, v16
	v_dual_add_f32 v10, v10, v5 :: v_dual_mul_f32 v23, 0xbf08b237, v23
	v_add_f32_e32 v13, v11, v5
	v_mul_f32_e32 v21, 0x3d64c772, v14
	v_dual_fmac_f32 v22, 0x3ee1c552, v16 :: v_dual_add_f32 v15, v4, v5
	v_fmac_f32_e32 v18, 0x3ee1c552, v16
	v_add_f32_e32 v16, v9, v6
	s_delay_alu instid0(VALU_DEP_4) | instskip(SKIP_2) | instid1(VALU_DEP_4)
	v_fma_f32 v14, 0x3f3bfb3b, v19, -v21
	v_fmamk_f32 v19, v8, 0x3eae86e6, v23
	v_fma_f32 v21, 0x3f5ff5aa, v7, -v23
	v_sub_f32_e32 v5, v16, v18
	s_delay_alu instid0(VALU_DEP_4) | instskip(NEXT) | instid1(VALU_DEP_4)
	v_add_f32_e32 v11, v14, v6
	v_fmac_f32_e32 v19, 0x3ee1c552, v17
	s_delay_alu instid0(VALU_DEP_2) | instskip(NEXT) | instid1(VALU_DEP_2)
	v_add_f32_e32 v9, v20, v11
	v_dual_sub_f32 v14, v15, v19 :: v_dual_fmac_f32 v21, 0x3ee1c552, v17
	v_mul_f32_e32 v25, 0x3f5ff5aa, v7
	v_add_f32_e32 v4, v19, v15
	v_sub_f32_e32 v11, v11, v20
	v_add_f32_e32 v15, v18, v16
	s_delay_alu instid0(VALU_DEP_4) | instskip(SKIP_1) | instid1(VALU_DEP_2)
	v_fma_f32 v23, 0xbeae86e6, v8, -v25
	v_sub_f32_e32 v8, v10, v21
	v_dual_add_f32 v10, v21, v10 :: v_dual_fmac_f32 v23, 0x3ee1c552, v17
	s_delay_alu instid0(VALU_DEP_1) | instskip(NEXT) | instid1(VALU_DEP_1)
	v_dual_add_f32 v17, v12, v6 :: v_dual_add_f32 v6, v23, v13
	v_sub_f32_e32 v7, v17, v22
	v_dual_sub_f32 v12, v13, v23 :: v_dual_add_f32 v13, v22, v17
	s_clause 0x6
	global_store_b64 v[2:3], v[0:1], off offset:1008
	global_store_b64 v[2:3], v[4:5], off offset:2088
	;; [unrolled: 1-line block ×7, first 2 shown]
.LBB0_18:
	s_nop 0
	s_sendmsg sendmsg(MSG_DEALLOC_VGPRS)
	s_endpgm
	.section	.rodata,"a",@progbits
	.p2align	6, 0x0
	.amdhsa_kernel fft_rtc_fwd_len945_factors_3_3_3_5_7_wgs_63_tpt_63_halfLds_sp_ip_CI_unitstride_sbrr_dirReg
		.amdhsa_group_segment_fixed_size 0
		.amdhsa_private_segment_fixed_size 0
		.amdhsa_kernarg_size 88
		.amdhsa_user_sgpr_count 2
		.amdhsa_user_sgpr_dispatch_ptr 0
		.amdhsa_user_sgpr_queue_ptr 0
		.amdhsa_user_sgpr_kernarg_segment_ptr 1
		.amdhsa_user_sgpr_dispatch_id 0
		.amdhsa_user_sgpr_private_segment_size 0
		.amdhsa_wavefront_size32 1
		.amdhsa_uses_dynamic_stack 0
		.amdhsa_enable_private_segment 0
		.amdhsa_system_sgpr_workgroup_id_x 1
		.amdhsa_system_sgpr_workgroup_id_y 0
		.amdhsa_system_sgpr_workgroup_id_z 0
		.amdhsa_system_sgpr_workgroup_info 0
		.amdhsa_system_vgpr_workitem_id 0
		.amdhsa_next_free_vgpr 90
		.amdhsa_next_free_sgpr 32
		.amdhsa_reserve_vcc 1
		.amdhsa_float_round_mode_32 0
		.amdhsa_float_round_mode_16_64 0
		.amdhsa_float_denorm_mode_32 3
		.amdhsa_float_denorm_mode_16_64 3
		.amdhsa_fp16_overflow 0
		.amdhsa_workgroup_processor_mode 1
		.amdhsa_memory_ordered 1
		.amdhsa_forward_progress 0
		.amdhsa_round_robin_scheduling 0
		.amdhsa_exception_fp_ieee_invalid_op 0
		.amdhsa_exception_fp_denorm_src 0
		.amdhsa_exception_fp_ieee_div_zero 0
		.amdhsa_exception_fp_ieee_overflow 0
		.amdhsa_exception_fp_ieee_underflow 0
		.amdhsa_exception_fp_ieee_inexact 0
		.amdhsa_exception_int_div_zero 0
	.end_amdhsa_kernel
	.text
.Lfunc_end0:
	.size	fft_rtc_fwd_len945_factors_3_3_3_5_7_wgs_63_tpt_63_halfLds_sp_ip_CI_unitstride_sbrr_dirReg, .Lfunc_end0-fft_rtc_fwd_len945_factors_3_3_3_5_7_wgs_63_tpt_63_halfLds_sp_ip_CI_unitstride_sbrr_dirReg
                                        ; -- End function
	.section	.AMDGPU.csdata,"",@progbits
; Kernel info:
; codeLenInByte = 9884
; NumSgprs: 34
; NumVgprs: 90
; ScratchSize: 0
; MemoryBound: 0
; FloatMode: 240
; IeeeMode: 1
; LDSByteSize: 0 bytes/workgroup (compile time only)
; SGPRBlocks: 4
; VGPRBlocks: 11
; NumSGPRsForWavesPerEU: 34
; NumVGPRsForWavesPerEU: 90
; Occupancy: 16
; WaveLimiterHint : 1
; COMPUTE_PGM_RSRC2:SCRATCH_EN: 0
; COMPUTE_PGM_RSRC2:USER_SGPR: 2
; COMPUTE_PGM_RSRC2:TRAP_HANDLER: 0
; COMPUTE_PGM_RSRC2:TGID_X_EN: 1
; COMPUTE_PGM_RSRC2:TGID_Y_EN: 0
; COMPUTE_PGM_RSRC2:TGID_Z_EN: 0
; COMPUTE_PGM_RSRC2:TIDIG_COMP_CNT: 0
	.text
	.p2alignl 7, 3214868480
	.fill 96, 4, 3214868480
	.type	__hip_cuid_28e700af0713c65,@object ; @__hip_cuid_28e700af0713c65
	.section	.bss,"aw",@nobits
	.globl	__hip_cuid_28e700af0713c65
__hip_cuid_28e700af0713c65:
	.byte	0                               ; 0x0
	.size	__hip_cuid_28e700af0713c65, 1

	.ident	"AMD clang version 19.0.0git (https://github.com/RadeonOpenCompute/llvm-project roc-6.4.0 25133 c7fe45cf4b819c5991fe208aaa96edf142730f1d)"
	.section	".note.GNU-stack","",@progbits
	.addrsig
	.addrsig_sym __hip_cuid_28e700af0713c65
	.amdgpu_metadata
---
amdhsa.kernels:
  - .args:
      - .actual_access:  read_only
        .address_space:  global
        .offset:         0
        .size:           8
        .value_kind:     global_buffer
      - .offset:         8
        .size:           8
        .value_kind:     by_value
      - .actual_access:  read_only
        .address_space:  global
        .offset:         16
        .size:           8
        .value_kind:     global_buffer
      - .actual_access:  read_only
        .address_space:  global
        .offset:         24
        .size:           8
        .value_kind:     global_buffer
      - .offset:         32
        .size:           8
        .value_kind:     by_value
      - .actual_access:  read_only
        .address_space:  global
        .offset:         40
        .size:           8
        .value_kind:     global_buffer
      - .actual_access:  read_only
        .address_space:  global
        .offset:         48
        .size:           8
        .value_kind:     global_buffer
      - .offset:         56
        .size:           4
        .value_kind:     by_value
      - .actual_access:  read_only
        .address_space:  global
        .offset:         64
        .size:           8
        .value_kind:     global_buffer
      - .actual_access:  read_only
        .address_space:  global
        .offset:         72
        .size:           8
        .value_kind:     global_buffer
      - .address_space:  global
        .offset:         80
        .size:           8
        .value_kind:     global_buffer
    .group_segment_fixed_size: 0
    .kernarg_segment_align: 8
    .kernarg_segment_size: 88
    .language:       OpenCL C
    .language_version:
      - 2
      - 0
    .max_flat_workgroup_size: 63
    .name:           fft_rtc_fwd_len945_factors_3_3_3_5_7_wgs_63_tpt_63_halfLds_sp_ip_CI_unitstride_sbrr_dirReg
    .private_segment_fixed_size: 0
    .sgpr_count:     34
    .sgpr_spill_count: 0
    .symbol:         fft_rtc_fwd_len945_factors_3_3_3_5_7_wgs_63_tpt_63_halfLds_sp_ip_CI_unitstride_sbrr_dirReg.kd
    .uniform_work_group_size: 1
    .uses_dynamic_stack: false
    .vgpr_count:     90
    .vgpr_spill_count: 0
    .wavefront_size: 32
    .workgroup_processor_mode: 1
amdhsa.target:   amdgcn-amd-amdhsa--gfx1201
amdhsa.version:
  - 1
  - 2
...

	.end_amdgpu_metadata
